;; amdgpu-corpus repo=ROCm/rocFFT kind=compiled arch=gfx1201 opt=O3
	.text
	.amdgcn_target "amdgcn-amd-amdhsa--gfx1201"
	.amdhsa_code_object_version 6
	.protected	bluestein_single_back_len1352_dim1_dp_op_CI_CI ; -- Begin function bluestein_single_back_len1352_dim1_dp_op_CI_CI
	.globl	bluestein_single_back_len1352_dim1_dp_op_CI_CI
	.p2align	8
	.type	bluestein_single_back_len1352_dim1_dp_op_CI_CI,@function
bluestein_single_back_len1352_dim1_dp_op_CI_CI: ; @bluestein_single_back_len1352_dim1_dp_op_CI_CI
; %bb.0:
	s_load_b128 s[12:15], s[0:1], 0x28
	v_mul_u32_u24_e32 v1, 0x4ed, v0
	s_mov_b32 s2, exec_lo
	v_mov_b32_e32 v4, 0
	s_delay_alu instid0(VALU_DEP_2) | instskip(NEXT) | instid1(VALU_DEP_1)
	v_lshrrev_b32_e32 v1, 16, v1
	v_add_nc_u32_e32 v3, ttmp9, v1
	s_wait_kmcnt 0x0
	s_delay_alu instid0(VALU_DEP_1)
	v_cmpx_gt_u64_e64 s[12:13], v[3:4]
	s_cbranch_execz .LBB0_12
; %bb.1:
	s_clause 0x2
	s_load_b128 s[8:11], s[0:1], 0x0
	s_load_b128 s[16:19], s[0:1], 0x18
	s_load_b64 s[12:13], s[0:1], 0x38
	v_mul_lo_u16 v1, v1, 52
	s_mov_b32 s48, 0x4267c47c
	s_mov_b32 s34, 0x42a4c3d2
	;; [unrolled: 1-line block ×4, first 2 shown]
	v_sub_nc_u16 v200, v0, v1
	s_mov_b32 s30, 0x4bc48dbf
	s_mov_b32 s49, 0xbfddbe06
	;; [unrolled: 1-line block ×4, first 2 shown]
	v_and_b32_e32 v248, 0xffff, v200
	v_mov_b32_e32 v2, v3
	v_lshlrev_b16 v104, 1, v200
	s_mov_b32 s27, 0xbfe5384d
	s_mov_b32 s31, 0xbfcea1e5
	v_lshlrev_b32_e32 v234, 4, v248
	s_mov_b32 s22, 0xe00740e9
	v_and_b32_e32 v104, 0xffff, v104
	s_wait_kmcnt 0x0
	s_load_b128 s[4:7], s[18:19], 0x0
	s_load_b128 s[0:3], s[16:17], 0x0
	s_mov_b32 s16, 0x2ef20147
	global_load_b128 v[12:15], v234, s[8:9]
	scratch_store_b64 off, v[2:3], off offset:32 ; 8-byte Folded Spill
	v_lshlrev_b32_e32 v251, 4, v104
	s_mov_b32 s17, 0xbfedeba7
	s_mov_b32 s18, 0x1ea71119
	;; [unrolled: 1-line block ×15, first 2 shown]
	s_wait_kmcnt 0x0
	v_mad_co_u64_u32 v[0:1], null, s2, v3, 0
                                        ; kill: def $vgpr4 killed $sgpr0 killed $exec
	s_mov_b32 s46, s16
	s_mov_b32 s43, 0x3fcea1e5
	;; [unrolled: 1-line block ×5, first 2 shown]
	s_delay_alu instid0(VALU_DEP_1) | instskip(SKIP_2) | instid1(VALU_DEP_2)
	v_mad_co_u64_u32 v[1:2], null, s3, v3, v[1:2]
	v_mad_co_u64_u32 v[2:3], null, s0, v248, 0
	s_mul_u64 s[2:3], s[0:1], 0x2a40
	v_lshlrev_b64_e32 v[0:1], 4, v[0:1]
	s_delay_alu instid0(VALU_DEP_2) | instskip(NEXT) | instid1(VALU_DEP_2)
	v_mad_co_u64_u32 v[3:4], null, s1, v248, v[3:4]
	v_add_co_u32 v10, vcc_lo, s14, v0
	s_delay_alu instid0(VALU_DEP_3) | instskip(NEXT) | instid1(VALU_DEP_3)
	v_add_co_ci_u32_e32 v11, vcc_lo, s15, v1, vcc_lo
	v_lshlrev_b64_e32 v[0:1], 4, v[2:3]
	s_movk_i32 s14, 0xd900
	s_mov_b32 s15, -1
	s_wait_alu 0xfffe
	s_mul_u64 s[14:15], s[0:1], s[14:15]
	s_delay_alu instid0(VALU_DEP_1)
	v_add_co_u32 v8, vcc_lo, v10, v0
	s_wait_alu 0xfffd
	v_add_co_ci_u32_e32 v9, vcc_lo, v11, v1, vcc_lo
	global_load_b128 v[0:3], v[8:9], off
	v_add_co_u32 v8, vcc_lo, v8, s2
	s_wait_alu 0xfffd
	v_add_co_ci_u32_e32 v9, vcc_lo, s3, v9, vcc_lo
	s_wait_loadcnt 0x1
	scratch_store_b128 off, v[12:15], off offset:44 ; 16-byte Folded Spill
	s_wait_loadcnt 0x0
	v_mul_f64_e32 v[4:5], v[2:3], v[14:15]
	s_delay_alu instid0(VALU_DEP_1) | instskip(SKIP_1) | instid1(VALU_DEP_1)
	v_fma_f64 v[4:5], v[0:1], v[12:13], v[4:5]
	v_mul_f64_e32 v[0:1], v[0:1], v[14:15]
	v_fma_f64 v[6:7], v[2:3], v[12:13], -v[0:1]
	ds_store_b128 v234, v[4:7]
	global_load_b128 v[0:3], v[8:9], off
	global_load_b128 v[12:15], v234, s[8:9] offset:10816
	s_wait_alu 0xfffe
	v_add_co_u32 v8, vcc_lo, v8, s14
	s_wait_alu 0xfffd
	v_add_co_ci_u32_e32 v9, vcc_lo, s15, v9, vcc_lo
	s_wait_loadcnt 0x0
	v_mul_f64_e32 v[4:5], v[2:3], v[14:15]
	scratch_store_b128 off, v[12:15], off offset:76 ; 16-byte Folded Spill
	v_fma_f64 v[4:5], v[0:1], v[12:13], v[4:5]
	v_mul_f64_e32 v[0:1], v[0:1], v[14:15]
	s_delay_alu instid0(VALU_DEP_1)
	v_fma_f64 v[6:7], v[2:3], v[12:13], -v[0:1]
	ds_store_b128 v234, v[4:7] offset:10816
	global_load_b128 v[0:3], v[8:9], off
	global_load_b128 v[12:15], v234, s[8:9] offset:832
	v_add_co_u32 v8, vcc_lo, v8, s2
	s_wait_alu 0xfffd
	v_add_co_ci_u32_e32 v9, vcc_lo, s3, v9, vcc_lo
	s_wait_loadcnt 0x0
	v_mul_f64_e32 v[4:5], v[2:3], v[14:15]
	scratch_store_b128 off, v[12:15], off offset:108 ; 16-byte Folded Spill
	v_fma_f64 v[4:5], v[0:1], v[12:13], v[4:5]
	v_mul_f64_e32 v[0:1], v[0:1], v[14:15]
	s_delay_alu instid0(VALU_DEP_1)
	v_fma_f64 v[6:7], v[2:3], v[12:13], -v[0:1]
	ds_store_b128 v234, v[4:7] offset:832
	global_load_b128 v[0:3], v[8:9], off
	global_load_b128 v[12:15], v234, s[8:9] offset:11648
	;; [unrolled: 13-line block ×5, first 2 shown]
	v_mad_co_u64_u32 v[8:9], null, 0x340, s0, v[8:9]
	s_wait_loadcnt 0x0
	v_mul_f64_e32 v[4:5], v[2:3], v[14:15]
	s_delay_alu instid0(VALU_DEP_1) | instskip(SKIP_1) | instid1(VALU_DEP_1)
	v_fma_f64 v[4:5], v[0:1], v[12:13], v[4:5]
	v_mul_f64_e32 v[0:1], v[0:1], v[14:15]
	v_fma_f64 v[6:7], v[2:3], v[12:13], -v[0:1]
	v_or_b32_e32 v3, 0x340, v248
                                        ; kill: def $vgpr2 killed $sgpr0 killed $exec
	s_clause 0x1
	scratch_store_b128 off, v[12:15], off offset:140
	scratch_store_b32 off, v3, off offset:156
	v_mad_co_u64_u32 v[0:1], null, s0, v3, 0
	s_delay_alu instid0(VALU_DEP_1) | instskip(NEXT) | instid1(VALU_DEP_1)
	v_mad_co_u64_u32 v[1:2], null, s1, v3, v[1:2]
	v_lshlrev_b64_e32 v[0:1], 4, v[0:1]
	s_delay_alu instid0(VALU_DEP_1) | instskip(SKIP_1) | instid1(VALU_DEP_2)
	v_add_co_u32 v0, vcc_lo, v10, v0
	s_wait_alu 0xfffd
	v_add_co_ci_u32_e32 v1, vcc_lo, v11, v1, vcc_lo
	ds_store_b128 v234, v[4:7] offset:2496
	global_load_b128 v[0:3], v[0:1], off
	global_load_b128 v[10:13], v234, s[8:9] offset:13312
	s_wait_loadcnt 0x0
	v_mul_f64_e32 v[4:5], v[2:3], v[12:13]
	scratch_store_b128 off, v[10:13], off offset:160 ; 16-byte Folded Spill
	v_fma_f64 v[4:5], v[0:1], v[10:11], v[4:5]
	v_mul_f64_e32 v[0:1], v[0:1], v[12:13]
	s_delay_alu instid0(VALU_DEP_1) | instskip(SKIP_1) | instid1(VALU_DEP_1)
	v_fma_f64 v[6:7], v[2:3], v[10:11], -v[0:1]
	v_mov_b32_e32 v0, v9
	v_mad_co_u64_u32 v[0:1], null, 0x340, s1, v[0:1]
	s_delay_alu instid0(VALU_DEP_1)
	v_mov_b32_e32 v9, v0
	v_lshlrev_b32_e32 v239, 5, v248
	v_and_b32_e32 v196, 1, v248
	v_add_co_u32 v202, null, v248, 52
	v_add_nc_u32_e32 v201, 0x138, v248
	v_add_co_u32 v224, null, 0xffffffe6, v248
	s_delay_alu instid0(VALU_DEP_4) | instskip(NEXT) | instid1(VALU_DEP_3)
	v_mul_u32_u24_e32 v104, 12, v196
	v_lshlrev_b32_e32 v249, 5, v201
	s_delay_alu instid0(VALU_DEP_2)
	v_lshlrev_b32_e32 v148, 4, v104
	ds_store_b128 v234, v[4:7] offset:13312
	global_load_b128 v[0:3], v[8:9], off
	global_load_b128 v[10:13], v234, s[8:9] offset:3328
	v_add_co_u32 v8, vcc_lo, v8, s2
	s_wait_alu 0xfffd
	v_add_co_ci_u32_e32 v9, vcc_lo, s3, v9, vcc_lo
	s_wait_loadcnt 0x0
	v_mul_f64_e32 v[4:5], v[2:3], v[12:13]
	scratch_store_b128 off, v[10:13], off offset:176 ; 16-byte Folded Spill
	v_fma_f64 v[4:5], v[0:1], v[10:11], v[4:5]
	v_mul_f64_e32 v[0:1], v[0:1], v[12:13]
	s_delay_alu instid0(VALU_DEP_1)
	v_fma_f64 v[6:7], v[2:3], v[10:11], -v[0:1]
	ds_store_b128 v234, v[4:7] offset:3328
	global_load_b128 v[0:3], v[8:9], off
	global_load_b128 v[10:13], v234, s[8:9] offset:14144
	v_add_co_u32 v8, vcc_lo, v8, s14
	s_wait_alu 0xfffd
	v_add_co_ci_u32_e32 v9, vcc_lo, s15, v9, vcc_lo
	s_wait_loadcnt 0x0
	v_mul_f64_e32 v[4:5], v[2:3], v[12:13]
	scratch_store_b128 off, v[10:13], off offset:192 ; 16-byte Folded Spill
	v_fma_f64 v[4:5], v[0:1], v[10:11], v[4:5]
	v_mul_f64_e32 v[0:1], v[0:1], v[12:13]
	s_delay_alu instid0(VALU_DEP_1)
	v_fma_f64 v[6:7], v[2:3], v[10:11], -v[0:1]
	;; [unrolled: 13-line block ×15, first 2 shown]
	ds_store_b128 v234, v[4:7] offset:9152
	global_load_b128 v[0:3], v[8:9], off
	global_load_b128 v[10:13], v234, s[8:9] offset:19968
	v_add_co_u32 v8, vcc_lo, v8, s14
	s_wait_alu 0xfffd
	v_add_co_ci_u32_e32 v9, vcc_lo, s15, v9, vcc_lo
	s_mov_b32 s14, 0xb2365da1
	s_mov_b32 s15, 0xbfd6b1d8
	s_wait_loadcnt 0x0
	v_mul_f64_e32 v[4:5], v[2:3], v[12:13]
	scratch_store_b128 off, v[10:13], off offset:416 ; 16-byte Folded Spill
	v_fma_f64 v[4:5], v[0:1], v[10:11], v[4:5]
	v_mul_f64_e32 v[0:1], v[0:1], v[12:13]
	s_delay_alu instid0(VALU_DEP_1)
	v_fma_f64 v[6:7], v[2:3], v[10:11], -v[0:1]
	ds_store_b128 v234, v[4:7] offset:19968
	global_load_b128 v[0:3], v[8:9], off
	global_load_b128 v[10:13], v234, s[8:9] offset:9984
	s_wait_loadcnt 0x0
	v_mul_f64_e32 v[4:5], v[2:3], v[12:13]
	scratch_store_b128 off, v[10:13], off offset:432 ; 16-byte Folded Spill
	v_fma_f64 v[4:5], v[0:1], v[10:11], v[4:5]
	v_mul_f64_e32 v[0:1], v[0:1], v[12:13]
	s_delay_alu instid0(VALU_DEP_1)
	v_fma_f64 v[6:7], v[2:3], v[10:11], -v[0:1]
	v_add_co_u32 v0, vcc_lo, v8, s2
	s_wait_alu 0xfffd
	v_add_co_ci_u32_e32 v1, vcc_lo, s3, v9, vcc_lo
	v_cmp_gt_u16_e64 vcc_lo, 26, v200
	v_lshlrev_b32_e32 v250, 5, v202
	s_mov_b32 s2, 0xebaa3ed8
	s_mov_b32 s3, 0x3fbedb7d
	ds_store_b128 v234, v[4:7] offset:9984
	global_load_b128 v[0:3], v[0:1], off
	global_load_b128 v[6:9], v234, s[8:9] offset:20800
	s_wait_loadcnt 0x0
	v_mul_f64_e32 v[4:5], v[2:3], v[8:9]
	scratch_store_b128 off, v[6:9], off offset:448 ; 16-byte Folded Spill
	v_fma_f64 v[4:5], v[0:1], v[6:7], v[4:5]
	v_mul_f64_e32 v[0:1], v[0:1], v[8:9]
	s_delay_alu instid0(VALU_DEP_1)
	v_fma_f64 v[6:7], v[2:3], v[6:7], -v[0:1]
	ds_store_b128 v234, v[4:7] offset:20800
	global_wb scope:SCOPE_SE
	s_wait_storecnt_dscnt 0x0
	s_barrier_signal -1
	s_barrier_wait -1
	global_inv scope:SCOPE_SE
	ds_load_b128 v[0:3], v234
	ds_load_b128 v[4:7], v234 offset:10816
	ds_load_b128 v[8:11], v234 offset:832
	;; [unrolled: 1-line block ×25, first 2 shown]
	s_wait_dscnt 0x18
	v_add_f64_e64 v[4:5], v[0:1], -v[4:5]
	v_add_f64_e64 v[6:7], v[2:3], -v[6:7]
	s_wait_dscnt 0x16
	v_add_f64_e64 v[12:13], v[8:9], -v[12:13]
	v_add_f64_e64 v[14:15], v[10:11], -v[14:15]
	;; [unrolled: 3-line block ×3, first 2 shown]
	s_wait_dscnt 0x12
	v_add_f64_e64 v[28:29], v[24:25], -v[28:29]
	s_wait_dscnt 0xc
	v_add_f64_e64 v[52:53], v[48:49], -v[52:53]
	v_add_f64_e64 v[54:55], v[50:51], -v[54:55]
	s_wait_dscnt 0xa
	v_add_f64_e64 v[60:61], v[56:57], -v[60:61]
	v_add_f64_e64 v[62:63], v[58:59], -v[62:63]
	v_add_f64_e64 v[30:31], v[26:27], -v[30:31]
	s_wait_dscnt 0x8
	v_add_f64_e64 v[68:69], v[64:65], -v[68:69]
	v_add_f64_e64 v[70:71], v[66:67], -v[70:71]
	v_add_f64_e64 v[36:37], v[32:33], -v[36:37]
	v_add_f64_e64 v[38:39], v[34:35], -v[38:39]
	s_wait_dscnt 0x6
	v_add_f64_e64 v[76:77], v[72:73], -v[76:77]
	;; [unrolled: 5-line block ×3, first 2 shown]
	v_add_f64_e64 v[86:87], v[82:83], -v[86:87]
	s_wait_dscnt 0x2
	v_add_f64_e64 v[92:93], v[88:89], -v[92:93]
	v_add_f64_e64 v[94:95], v[90:91], -v[94:95]
	s_wait_dscnt 0x0
	v_add_f64_e64 v[100:101], v[96:97], -v[100:101]
	v_add_f64_e64 v[102:103], v[98:99], -v[102:103]
	global_wb scope:SCOPE_SE
	s_barrier_signal -1
	s_barrier_wait -1
	global_inv scope:SCOPE_SE
	v_fma_f64 v[0:1], v[0:1], 2.0, -v[4:5]
	v_fma_f64 v[2:3], v[2:3], 2.0, -v[6:7]
	;; [unrolled: 1-line block ×26, first 2 shown]
	ds_store_b128 v251, v[0:3]
	ds_store_b128 v251, v[4:7] offset:16
	ds_store_b128 v250, v[8:11]
	ds_store_b128 v250, v[12:15] offset:16
	ds_store_b128 v239, v[16:19] offset:3328
	;; [unrolled: 1-line block ×23, first 2 shown]
	global_wb scope:SCOPE_SE
	s_wait_dscnt 0x0
	s_barrier_signal -1
	s_barrier_wait -1
	global_inv scope:SCOPE_SE
	ds_load_b128 v[4:7], v234
	ds_load_b128 v[100:103], v234 offset:1664
	ds_load_b128 v[96:99], v234 offset:3328
	;; [unrolled: 1-line block ×25, first 2 shown]
	s_clause 0x3
	global_load_b128 v[104:107], v148, s[10:11] offset:48
	global_load_b128 v[108:111], v148, s[10:11] offset:32
	global_load_b128 v[112:115], v148, s[10:11] offset:16
	global_load_b128 v[132:135], v148, s[10:11]
	s_wait_loadcnt_dscnt 0x18
	v_mul_f64_e32 v[116:117], v[102:103], v[134:135]
	s_delay_alu instid0(VALU_DEP_1)
	v_fma_f64 v[197:198], v[100:101], v[132:133], -v[116:117]
	s_clause 0x3
	global_load_b128 v[116:119], v148, s[10:11] offset:112
	global_load_b128 v[120:123], v148, s[10:11] offset:96
	;; [unrolled: 1-line block ×4, first 2 shown]
	v_mul_f64_e32 v[100:101], v[100:101], v[134:135]
	s_clause 0x3
	global_load_b128 v[128:131], v148, s[10:11] offset:176
	global_load_b128 v[136:139], v148, s[10:11] offset:160
	;; [unrolled: 1-line block ×4, first 2 shown]
	global_wb scope:SCOPE_SE
	s_wait_loadcnt_dscnt 0x0
	s_barrier_signal -1
	s_barrier_wait -1
	global_inv scope:SCOPE_SE
	v_fma_f64 v[203:204], v[102:103], v[132:133], v[100:101]
	v_mul_f64_e32 v[100:101], v[98:99], v[114:115]
	s_delay_alu instid0(VALU_DEP_1) | instskip(SKIP_1) | instid1(VALU_DEP_1)
	v_fma_f64 v[180:181], v[96:97], v[112:113], -v[100:101]
	v_mul_f64_e32 v[96:97], v[96:97], v[114:115]
	v_fma_f64 v[182:183], v[98:99], v[112:113], v[96:97]
	v_mul_f64_e32 v[96:97], v[94:95], v[110:111]
	s_delay_alu instid0(VALU_DEP_1) | instskip(SKIP_1) | instid1(VALU_DEP_1)
	v_fma_f64 v[174:175], v[92:93], v[108:109], -v[96:97]
	v_mul_f64_e32 v[92:93], v[92:93], v[110:111]
	;; [unrolled: 5-line block ×21, first 2 shown]
	v_fma_f64 v[86:87], v[14:15], v[140:141], v[12:13]
	v_mul_f64_e32 v[12:13], v[10:11], v[138:139]
	v_add_f64_e64 v[14:15], v[203:204], -v[52:53]
	s_delay_alu instid0(VALU_DEP_2) | instskip(SKIP_2) | instid1(VALU_DEP_4)
	v_fma_f64 v[98:99], v[8:9], v[136:137], -v[12:13]
	v_mul_f64_e32 v[8:9], v[8:9], v[138:139]
	v_add_f64_e64 v[12:13], v[197:198], -v[205:206]
	v_mul_f64_e32 v[16:17], s[48:49], v[14:15]
	v_mul_f64_e32 v[24:25], s[34:35], v[14:15]
	;; [unrolled: 1-line block ×6, first 2 shown]
	v_fma_f64 v[94:95], v[10:11], v[136:137], v[8:9]
	v_mul_f64_e32 v[8:9], v[2:3], v[130:131]
	v_add_f64_e32 v[10:11], v[203:204], v[52:53]
	v_mul_f64_e32 v[20:21], s[48:49], v[12:13]
	v_mul_f64_e32 v[28:29], s[34:35], v[12:13]
	;; [unrolled: 1-line block ×4, first 2 shown]
	v_fma_f64 v[178:179], v[0:1], v[128:129], -v[8:9]
	v_mul_f64_e32 v[0:1], v[0:1], v[130:131]
	v_add_f64_e32 v[8:9], v[197:198], v[205:206]
	v_fma_f64 v[22:23], v[10:11], s[22:23], v[20:21]
	v_fma_f64 v[20:21], v[10:11], s[22:23], -v[20:21]
	v_fma_f64 v[30:31], v[10:11], s[18:19], v[28:29]
	v_fma_f64 v[28:29], v[10:11], s[18:19], -v[28:29]
	s_wait_alu 0xfffe
	v_fma_f64 v[38:39], v[10:11], s[2:3], v[36:37]
	v_fma_f64 v[36:37], v[10:11], s[2:3], -v[36:37]
	v_fma_f64 v[46:47], v[10:11], s[14:15], v[44:45]
	v_fma_f64 v[44:45], v[10:11], s[14:15], -v[44:45]
	v_fma_f64 v[102:103], v[2:3], v[128:129], v[0:1]
	v_add_f64_e32 v[2:3], v[6:7], v[203:204]
	v_add_f64_e32 v[0:1], v[4:5], v[197:198]
	v_fma_f64 v[18:19], v[8:9], s[22:23], -v[16:17]
	v_fma_f64 v[16:17], v[8:9], s[22:23], v[16:17]
	v_fma_f64 v[26:27], v[8:9], s[18:19], -v[24:25]
	v_fma_f64 v[24:25], v[8:9], s[18:19], v[24:25]
	;; [unrolled: 2-line block ×6, first 2 shown]
	v_add_f64_e64 v[14:15], v[182:183], -v[194:195]
	v_add_f64_e32 v[22:23], v[6:7], v[22:23]
	v_add_f64_e32 v[20:21], v[6:7], v[20:21]
	;; [unrolled: 1-line block ×24, first 2 shown]
	s_delay_alu instid0(VALU_DEP_2) | instskip(NEXT) | instid1(VALU_DEP_2)
	v_add_f64_e32 v[2:3], v[2:3], v[166:167]
	v_add_f64_e32 v[0:1], v[0:1], v[164:165]
	s_delay_alu instid0(VALU_DEP_2) | instskip(NEXT) | instid1(VALU_DEP_2)
	v_add_f64_e32 v[2:3], v[2:3], v[162:163]
	v_add_f64_e32 v[0:1], v[0:1], v[160:161]
	;; [unrolled: 3-line block ×8, first 2 shown]
	s_delay_alu instid0(VALU_DEP_2) | instskip(SKIP_2) | instid1(VALU_DEP_4)
	v_add_f64_e32 v[2:3], v[2:3], v[52:53]
	v_mul_f64_e32 v[52:53], s[26:27], v[12:13]
	v_mul_f64_e32 v[12:13], s[30:31], v[12:13]
	v_add_f64_e32 v[0:1], v[0:1], v[205:206]
	s_delay_alu instid0(VALU_DEP_3) | instskip(SKIP_1) | instid1(VALU_DEP_4)
	v_fma_f64 v[54:55], v[10:11], s[24:25], v[52:53]
	v_fma_f64 v[52:53], v[10:11], s[24:25], -v[52:53]
	v_fma_f64 v[203:204], v[10:11], s[28:29], v[12:13]
	v_fma_f64 v[8:9], v[10:11], s[28:29], -v[12:13]
	v_add_f64_e64 v[12:13], v[180:181], -v[192:193]
	v_add_f64_e32 v[10:11], v[182:183], v[194:195]
	v_add_f64_e64 v[194:195], v[100:101], -v[102:103]
	v_add_f64_e32 v[54:55], v[6:7], v[54:55]
	v_add_f64_e32 v[52:53], v[6:7], v[52:53]
	;; [unrolled: 1-line block ×5, first 2 shown]
	v_mul_f64_e32 v[180:181], s[34:35], v[14:15]
	s_delay_alu instid0(VALU_DEP_1) | instskip(SKIP_1) | instid1(VALU_DEP_2)
	v_fma_f64 v[182:183], v[8:9], s[18:19], -v[180:181]
	v_fma_f64 v[180:181], v[8:9], s[18:19], v[180:181]
	v_add_f64_e32 v[18:19], v[182:183], v[18:19]
	v_mul_f64_e32 v[182:183], s[34:35], v[12:13]
	s_delay_alu instid0(VALU_DEP_3) | instskip(NEXT) | instid1(VALU_DEP_2)
	v_add_f64_e32 v[16:17], v[180:181], v[16:17]
	v_fma_f64 v[180:181], v[10:11], s[18:19], -v[182:183]
	v_fma_f64 v[192:193], v[10:11], s[18:19], v[182:183]
	s_delay_alu instid0(VALU_DEP_2) | instskip(SKIP_1) | instid1(VALU_DEP_3)
	v_add_f64_e32 v[20:21], v[180:181], v[20:21]
	v_mul_f64_e32 v[180:181], s[16:17], v[14:15]
	v_add_f64_e32 v[22:23], v[192:193], v[22:23]
	s_delay_alu instid0(VALU_DEP_2) | instskip(SKIP_1) | instid1(VALU_DEP_2)
	v_fma_f64 v[182:183], v[8:9], s[14:15], -v[180:181]
	v_fma_f64 v[180:181], v[8:9], s[14:15], v[180:181]
	v_add_f64_e32 v[26:27], v[182:183], v[26:27]
	v_mul_f64_e32 v[182:183], s[16:17], v[12:13]
	s_delay_alu instid0(VALU_DEP_3) | instskip(NEXT) | instid1(VALU_DEP_2)
	v_add_f64_e32 v[24:25], v[180:181], v[24:25]
	v_fma_f64 v[180:181], v[10:11], s[14:15], -v[182:183]
	v_fma_f64 v[192:193], v[10:11], s[14:15], v[182:183]
	s_delay_alu instid0(VALU_DEP_2) | instskip(SKIP_1) | instid1(VALU_DEP_3)
	v_add_f64_e32 v[28:29], v[180:181], v[28:29]
	v_mul_f64_e32 v[180:181], s[30:31], v[14:15]
	v_add_f64_e32 v[30:31], v[192:193], v[30:31]
	s_delay_alu instid0(VALU_DEP_2) | instskip(SKIP_1) | instid1(VALU_DEP_2)
	;; [unrolled: 13-line block ×3, first 2 shown]
	v_fma_f64 v[182:183], v[8:9], s[24:25], -v[180:181]
	v_fma_f64 v[180:181], v[8:9], s[24:25], v[180:181]
	v_add_f64_e32 v[42:43], v[182:183], v[42:43]
	v_mul_f64_e32 v[182:183], s[44:45], v[12:13]
	s_delay_alu instid0(VALU_DEP_3) | instskip(NEXT) | instid1(VALU_DEP_2)
	v_add_f64_e32 v[40:41], v[180:181], v[40:41]
	v_fma_f64 v[180:181], v[10:11], s[24:25], -v[182:183]
	v_fma_f64 v[192:193], v[10:11], s[24:25], v[182:183]
	s_delay_alu instid0(VALU_DEP_2) | instskip(SKIP_2) | instid1(VALU_DEP_4)
	v_add_f64_e32 v[44:45], v[180:181], v[44:45]
	v_mul_f64_e32 v[180:181], s[20:21], v[14:15]
	v_mul_f64_e32 v[14:15], s[38:39], v[14:15]
	v_add_f64_e32 v[46:47], v[192:193], v[46:47]
	s_delay_alu instid0(VALU_DEP_3) | instskip(SKIP_1) | instid1(VALU_DEP_2)
	v_fma_f64 v[182:183], v[8:9], s[2:3], -v[180:181]
	v_fma_f64 v[180:181], v[8:9], s[2:3], v[180:181]
	v_add_f64_e32 v[50:51], v[182:183], v[50:51]
	v_mul_f64_e32 v[182:183], s[20:21], v[12:13]
	s_delay_alu instid0(VALU_DEP_3) | instskip(SKIP_1) | instid1(VALU_DEP_3)
	v_add_f64_e32 v[48:49], v[180:181], v[48:49]
	v_mul_f64_e32 v[12:13], s[38:39], v[12:13]
	v_fma_f64 v[180:181], v[10:11], s[2:3], -v[182:183]
	v_fma_f64 v[192:193], v[10:11], s[2:3], v[182:183]
	s_delay_alu instid0(VALU_DEP_3) | instskip(NEXT) | instid1(VALU_DEP_3)
	v_fma_f64 v[182:183], v[10:11], s[22:23], v[12:13]
	v_add_f64_e32 v[52:53], v[180:181], v[52:53]
	v_fma_f64 v[180:181], v[8:9], s[22:23], -v[14:15]
	v_fma_f64 v[8:9], v[8:9], s[22:23], v[14:15]
	v_add_f64_e64 v[14:15], v[176:177], -v[190:191]
	v_add_f64_e32 v[54:55], v[192:193], v[54:55]
	v_add_f64_e32 v[182:183], v[182:183], v[203:204]
	;; [unrolled: 1-line block ×4, first 2 shown]
	v_fma_f64 v[8:9], v[10:11], s[22:23], -v[12:13]
	v_add_f64_e64 v[12:13], v[174:175], -v[188:189]
	v_add_f64_e32 v[10:11], v[176:177], v[190:191]
	v_mul_f64_e32 v[190:191], s[26:27], v[194:195]
	v_mul_f64_e32 v[197:198], s[30:31], v[194:195]
	v_add_f64_e32 v[6:7], v[8:9], v[6:7]
	v_add_f64_e32 v[8:9], v[174:175], v[188:189]
	v_mul_f64_e32 v[174:175], s[40:41], v[14:15]
	s_delay_alu instid0(VALU_DEP_1) | instskip(SKIP_1) | instid1(VALU_DEP_2)
	v_fma_f64 v[176:177], v[8:9], s[2:3], -v[174:175]
	v_fma_f64 v[174:175], v[8:9], s[2:3], v[174:175]
	v_add_f64_e32 v[18:19], v[176:177], v[18:19]
	v_mul_f64_e32 v[176:177], s[40:41], v[12:13]
	s_delay_alu instid0(VALU_DEP_3) | instskip(NEXT) | instid1(VALU_DEP_2)
	v_add_f64_e32 v[16:17], v[174:175], v[16:17]
	v_fma_f64 v[174:175], v[10:11], s[2:3], -v[176:177]
	v_fma_f64 v[188:189], v[10:11], s[2:3], v[176:177]
	s_delay_alu instid0(VALU_DEP_2) | instskip(SKIP_1) | instid1(VALU_DEP_3)
	v_add_f64_e32 v[20:21], v[174:175], v[20:21]
	v_mul_f64_e32 v[174:175], s[30:31], v[14:15]
	v_add_f64_e32 v[22:23], v[188:189], v[22:23]
	s_delay_alu instid0(VALU_DEP_2) | instskip(SKIP_1) | instid1(VALU_DEP_2)
	v_fma_f64 v[176:177], v[8:9], s[28:29], -v[174:175]
	v_fma_f64 v[174:175], v[8:9], s[28:29], v[174:175]
	v_add_f64_e32 v[26:27], v[176:177], v[26:27]
	v_mul_f64_e32 v[176:177], s[30:31], v[12:13]
	s_delay_alu instid0(VALU_DEP_3) | instskip(NEXT) | instid1(VALU_DEP_2)
	v_add_f64_e32 v[24:25], v[174:175], v[24:25]
	v_fma_f64 v[174:175], v[10:11], s[28:29], -v[176:177]
	v_fma_f64 v[188:189], v[10:11], s[28:29], v[176:177]
	s_delay_alu instid0(VALU_DEP_2) | instskip(SKIP_1) | instid1(VALU_DEP_3)
	v_add_f64_e32 v[28:29], v[174:175], v[28:29]
	v_mul_f64_e32 v[174:175], s[46:47], v[14:15]
	v_add_f64_e32 v[30:31], v[188:189], v[30:31]
	s_delay_alu instid0(VALU_DEP_2) | instskip(SKIP_1) | instid1(VALU_DEP_2)
	;; [unrolled: 13-line block ×3, first 2 shown]
	v_fma_f64 v[176:177], v[8:9], s[22:23], -v[174:175]
	v_fma_f64 v[174:175], v[8:9], s[22:23], v[174:175]
	v_add_f64_e32 v[42:43], v[176:177], v[42:43]
	v_mul_f64_e32 v[176:177], s[38:39], v[12:13]
	s_delay_alu instid0(VALU_DEP_3) | instskip(NEXT) | instid1(VALU_DEP_2)
	v_add_f64_e32 v[40:41], v[174:175], v[40:41]
	v_fma_f64 v[174:175], v[10:11], s[22:23], -v[176:177]
	v_fma_f64 v[188:189], v[10:11], s[22:23], v[176:177]
	s_delay_alu instid0(VALU_DEP_2) | instskip(SKIP_2) | instid1(VALU_DEP_4)
	v_add_f64_e32 v[44:45], v[174:175], v[44:45]
	v_mul_f64_e32 v[174:175], s[34:35], v[14:15]
	v_mul_f64_e32 v[14:15], s[26:27], v[14:15]
	v_add_f64_e32 v[46:47], v[188:189], v[46:47]
	s_delay_alu instid0(VALU_DEP_3) | instskip(SKIP_1) | instid1(VALU_DEP_2)
	v_fma_f64 v[176:177], v[8:9], s[18:19], -v[174:175]
	v_fma_f64 v[174:175], v[8:9], s[18:19], v[174:175]
	v_add_f64_e32 v[50:51], v[176:177], v[50:51]
	v_mul_f64_e32 v[176:177], s[34:35], v[12:13]
	s_delay_alu instid0(VALU_DEP_3) | instskip(SKIP_1) | instid1(VALU_DEP_3)
	v_add_f64_e32 v[48:49], v[174:175], v[48:49]
	v_mul_f64_e32 v[12:13], s[26:27], v[12:13]
	v_fma_f64 v[174:175], v[10:11], s[18:19], -v[176:177]
	v_fma_f64 v[188:189], v[10:11], s[18:19], v[176:177]
	s_delay_alu instid0(VALU_DEP_3) | instskip(NEXT) | instid1(VALU_DEP_3)
	v_fma_f64 v[176:177], v[10:11], s[24:25], v[12:13]
	v_add_f64_e32 v[52:53], v[174:175], v[52:53]
	v_fma_f64 v[174:175], v[8:9], s[24:25], -v[14:15]
	v_fma_f64 v[8:9], v[8:9], s[24:25], v[14:15]
	v_add_f64_e64 v[14:15], v[166:167], -v[186:187]
	v_add_f64_e32 v[54:55], v[188:189], v[54:55]
	v_add_f64_e32 v[176:177], v[176:177], v[182:183]
	v_mul_f64_e32 v[182:183], s[16:17], v[194:195]
	v_add_f64_e32 v[174:175], v[174:175], v[180:181]
	v_add_f64_e32 v[4:5], v[8:9], v[4:5]
	v_fma_f64 v[8:9], v[10:11], s[24:25], -v[12:13]
	v_add_f64_e64 v[12:13], v[164:165], -v[184:185]
	v_add_f64_e32 v[10:11], v[166:167], v[186:187]
	s_delay_alu instid0(VALU_DEP_3) | instskip(SKIP_2) | instid1(VALU_DEP_1)
	v_add_f64_e32 v[6:7], v[8:9], v[6:7]
	v_add_f64_e32 v[8:9], v[164:165], v[184:185]
	v_mul_f64_e32 v[164:165], s[16:17], v[14:15]
	v_fma_f64 v[166:167], v[8:9], s[14:15], -v[164:165]
	v_fma_f64 v[164:165], v[8:9], s[14:15], v[164:165]
	s_delay_alu instid0(VALU_DEP_2) | instskip(SKIP_1) | instid1(VALU_DEP_3)
	v_add_f64_e32 v[18:19], v[166:167], v[18:19]
	v_mul_f64_e32 v[166:167], s[16:17], v[12:13]
	v_add_f64_e32 v[16:17], v[164:165], v[16:17]
	s_delay_alu instid0(VALU_DEP_2) | instskip(SKIP_1) | instid1(VALU_DEP_2)
	v_fma_f64 v[164:165], v[10:11], s[14:15], -v[166:167]
	v_fma_f64 v[180:181], v[10:11], s[14:15], v[166:167]
	v_add_f64_e32 v[20:21], v[164:165], v[20:21]
	v_mul_f64_e32 v[164:165], s[44:45], v[14:15]
	s_delay_alu instid0(VALU_DEP_3) | instskip(NEXT) | instid1(VALU_DEP_2)
	v_add_f64_e32 v[22:23], v[180:181], v[22:23]
	v_fma_f64 v[166:167], v[8:9], s[24:25], -v[164:165]
	v_fma_f64 v[164:165], v[8:9], s[24:25], v[164:165]
	s_delay_alu instid0(VALU_DEP_2) | instskip(SKIP_1) | instid1(VALU_DEP_3)
	v_add_f64_e32 v[26:27], v[166:167], v[26:27]
	v_mul_f64_e32 v[166:167], s[44:45], v[12:13]
	v_add_f64_e32 v[24:25], v[164:165], v[24:25]
	s_delay_alu instid0(VALU_DEP_2) | instskip(SKIP_1) | instid1(VALU_DEP_2)
	v_fma_f64 v[164:165], v[10:11], s[24:25], -v[166:167]
	v_fma_f64 v[180:181], v[10:11], s[24:25], v[166:167]
	v_add_f64_e32 v[28:29], v[164:165], v[28:29]
	v_mul_f64_e32 v[164:165], s[38:39], v[14:15]
	s_delay_alu instid0(VALU_DEP_3) | instskip(NEXT) | instid1(VALU_DEP_2)
	v_add_f64_e32 v[30:31], v[180:181], v[30:31]
	;; [unrolled: 13-line block ×3, first 2 shown]
	v_fma_f64 v[166:167], v[8:9], s[2:3], -v[164:165]
	v_fma_f64 v[164:165], v[8:9], s[2:3], v[164:165]
	s_delay_alu instid0(VALU_DEP_2) | instskip(SKIP_1) | instid1(VALU_DEP_3)
	v_add_f64_e32 v[42:43], v[166:167], v[42:43]
	v_mul_f64_e32 v[166:167], s[40:41], v[12:13]
	v_add_f64_e32 v[40:41], v[164:165], v[40:41]
	s_delay_alu instid0(VALU_DEP_2) | instskip(SKIP_1) | instid1(VALU_DEP_2)
	v_fma_f64 v[164:165], v[10:11], s[2:3], -v[166:167]
	v_fma_f64 v[180:181], v[10:11], s[2:3], v[166:167]
	v_add_f64_e32 v[44:45], v[164:165], v[44:45]
	v_mul_f64_e32 v[164:165], s[42:43], v[14:15]
	v_mul_f64_e32 v[14:15], s[36:37], v[14:15]
	s_delay_alu instid0(VALU_DEP_4) | instskip(NEXT) | instid1(VALU_DEP_3)
	v_add_f64_e32 v[46:47], v[180:181], v[46:47]
	v_fma_f64 v[166:167], v[8:9], s[28:29], -v[164:165]
	v_fma_f64 v[164:165], v[8:9], s[28:29], v[164:165]
	s_delay_alu instid0(VALU_DEP_2) | instskip(SKIP_1) | instid1(VALU_DEP_3)
	v_add_f64_e32 v[50:51], v[166:167], v[50:51]
	v_mul_f64_e32 v[166:167], s[42:43], v[12:13]
	v_add_f64_e32 v[48:49], v[164:165], v[48:49]
	v_mul_f64_e32 v[12:13], s[36:37], v[12:13]
	s_delay_alu instid0(VALU_DEP_3) | instskip(SKIP_1) | instid1(VALU_DEP_3)
	v_fma_f64 v[164:165], v[10:11], s[28:29], -v[166:167]
	v_fma_f64 v[180:181], v[10:11], s[28:29], v[166:167]
	v_fma_f64 v[166:167], v[10:11], s[18:19], v[12:13]
	s_delay_alu instid0(VALU_DEP_3)
	v_add_f64_e32 v[52:53], v[164:165], v[52:53]
	v_fma_f64 v[164:165], v[8:9], s[18:19], -v[14:15]
	v_fma_f64 v[8:9], v[8:9], s[18:19], v[14:15]
	v_add_f64_e64 v[14:15], v[162:163], -v[170:171]
	v_add_f64_e32 v[54:55], v[180:181], v[54:55]
	v_add_f64_e32 v[166:167], v[166:167], v[176:177]
	;; [unrolled: 1-line block ×3, first 2 shown]
	v_add_f64_e64 v[154:155], v[154:155], -v[158:159]
	v_add_f64_e32 v[164:165], v[164:165], v[174:175]
	v_add_f64_e32 v[4:5], v[8:9], v[4:5]
	v_fma_f64 v[8:9], v[10:11], s[18:19], -v[12:13]
	v_add_f64_e64 v[12:13], v[160:161], -v[168:169]
	v_add_f64_e32 v[10:11], v[162:163], v[170:171]
	v_add_f64_e32 v[174:175], v[152:153], v[156:157]
	v_add_f64_e64 v[152:153], v[152:153], -v[156:157]
	v_add_f64_e32 v[6:7], v[8:9], v[6:7]
	v_add_f64_e32 v[8:9], v[160:161], v[168:169]
	v_mul_f64_e32 v[160:161], s[26:27], v[14:15]
	s_delay_alu instid0(VALU_DEP_1) | instskip(SKIP_1) | instid1(VALU_DEP_2)
	v_fma_f64 v[162:163], v[8:9], s[24:25], -v[160:161]
	v_fma_f64 v[160:161], v[8:9], s[24:25], v[160:161]
	v_add_f64_e32 v[18:19], v[162:163], v[18:19]
	v_mul_f64_e32 v[162:163], s[26:27], v[12:13]
	s_delay_alu instid0(VALU_DEP_3) | instskip(NEXT) | instid1(VALU_DEP_2)
	v_add_f64_e32 v[16:17], v[160:161], v[16:17]
	v_fma_f64 v[160:161], v[10:11], s[24:25], -v[162:163]
	v_fma_f64 v[168:169], v[10:11], s[24:25], v[162:163]
	s_delay_alu instid0(VALU_DEP_2) | instskip(SKIP_1) | instid1(VALU_DEP_3)
	v_add_f64_e32 v[20:21], v[160:161], v[20:21]
	v_mul_f64_e32 v[160:161], s[20:21], v[14:15]
	v_add_f64_e32 v[22:23], v[168:169], v[22:23]
	s_delay_alu instid0(VALU_DEP_2) | instskip(NEXT) | instid1(VALU_DEP_1)
	v_fma_f64 v[162:163], v[8:9], s[2:3], -v[160:161]
	v_add_f64_e32 v[26:27], v[162:163], v[26:27]
	v_mul_f64_e32 v[162:163], s[20:21], v[12:13]
	s_delay_alu instid0(VALU_DEP_1) | instskip(NEXT) | instid1(VALU_DEP_1)
	v_fma_f64 v[168:169], v[10:11], s[2:3], v[162:163]
	v_add_f64_e32 v[168:169], v[168:169], v[30:31]
	v_fma_f64 v[30:31], v[8:9], s[2:3], v[160:161]
	s_delay_alu instid0(VALU_DEP_1) | instskip(SKIP_1) | instid1(VALU_DEP_1)
	v_add_f64_e32 v[24:25], v[30:31], v[24:25]
	v_fma_f64 v[30:31], v[10:11], s[2:3], -v[162:163]
	v_add_f64_e32 v[160:161], v[30:31], v[28:29]
	v_mul_f64_e32 v[28:29], s[34:35], v[14:15]
	s_delay_alu instid0(VALU_DEP_1) | instskip(SKIP_1) | instid1(VALU_DEP_2)
	v_fma_f64 v[30:31], v[8:9], s[18:19], -v[28:29]
	v_fma_f64 v[28:29], v[8:9], s[18:19], v[28:29]
	v_add_f64_e32 v[34:35], v[30:31], v[34:35]
	v_mul_f64_e32 v[30:31], s[34:35], v[12:13]
	s_delay_alu instid0(VALU_DEP_3) | instskip(NEXT) | instid1(VALU_DEP_2)
	v_add_f64_e32 v[32:33], v[28:29], v[32:33]
	v_fma_f64 v[28:29], v[10:11], s[18:19], -v[30:31]
	v_fma_f64 v[162:163], v[10:11], s[18:19], v[30:31]
	s_delay_alu instid0(VALU_DEP_2) | instskip(SKIP_1) | instid1(VALU_DEP_3)
	v_add_f64_e32 v[36:37], v[28:29], v[36:37]
	v_mul_f64_e32 v[28:29], s[42:43], v[14:15]
	v_add_f64_e32 v[38:39], v[162:163], v[38:39]
	s_delay_alu instid0(VALU_DEP_2) | instskip(SKIP_1) | instid1(VALU_DEP_2)
	v_fma_f64 v[30:31], v[8:9], s[28:29], -v[28:29]
	v_fma_f64 v[28:29], v[8:9], s[28:29], v[28:29]
	v_add_f64_e32 v[42:43], v[30:31], v[42:43]
	v_mul_f64_e32 v[30:31], s[42:43], v[12:13]
	s_delay_alu instid0(VALU_DEP_3) | instskip(NEXT) | instid1(VALU_DEP_2)
	v_add_f64_e32 v[40:41], v[28:29], v[40:41]
	v_fma_f64 v[28:29], v[10:11], s[28:29], -v[30:31]
	v_fma_f64 v[162:163], v[10:11], s[28:29], v[30:31]
	s_delay_alu instid0(VALU_DEP_2) | instskip(SKIP_2) | instid1(VALU_DEP_4)
	v_add_f64_e32 v[44:45], v[28:29], v[44:45]
	v_mul_f64_e32 v[28:29], s[38:39], v[14:15]
	v_mul_f64_e32 v[14:15], s[16:17], v[14:15]
	v_add_f64_e32 v[46:47], v[162:163], v[46:47]
	s_delay_alu instid0(VALU_DEP_3) | instskip(SKIP_1) | instid1(VALU_DEP_2)
	v_fma_f64 v[30:31], v[8:9], s[22:23], -v[28:29]
	v_fma_f64 v[28:29], v[8:9], s[22:23], v[28:29]
	v_add_f64_e32 v[50:51], v[30:31], v[50:51]
	v_mul_f64_e32 v[30:31], s[38:39], v[12:13]
	s_delay_alu instid0(VALU_DEP_3) | instskip(SKIP_1) | instid1(VALU_DEP_3)
	v_add_f64_e32 v[48:49], v[28:29], v[48:49]
	v_mul_f64_e32 v[12:13], s[16:17], v[12:13]
	v_fma_f64 v[28:29], v[10:11], s[22:23], -v[30:31]
	v_fma_f64 v[162:163], v[10:11], s[22:23], v[30:31]
	s_delay_alu instid0(VALU_DEP_2) | instskip(SKIP_1) | instid1(VALU_DEP_3)
	v_add_f64_e32 v[52:53], v[28:29], v[52:53]
	v_fma_f64 v[28:29], v[8:9], s[14:15], -v[14:15]
	v_add_f64_e32 v[54:55], v[162:163], v[54:55]
	v_fma_f64 v[8:9], v[8:9], s[14:15], v[14:15]
	s_delay_alu instid0(VALU_DEP_3) | instskip(SKIP_1) | instid1(VALU_DEP_1)
	v_add_f64_e32 v[162:163], v[28:29], v[164:165]
	v_fma_f64 v[28:29], v[10:11], s[14:15], v[12:13]
	v_add_f64_e32 v[164:165], v[28:29], v[166:167]
	s_delay_alu instid0(VALU_DEP_4) | instskip(SKIP_1) | instid1(VALU_DEP_1)
	v_add_f64_e32 v[166:167], v[8:9], v[4:5]
	v_fma_f64 v[4:5], v[10:11], s[14:15], -v[12:13]
	v_add_f64_e32 v[170:171], v[4:5], v[6:7]
	v_mul_f64_e32 v[4:5], s[30:31], v[154:155]
	s_delay_alu instid0(VALU_DEP_1) | instskip(SKIP_1) | instid1(VALU_DEP_2)
	v_fma_f64 v[6:7], v[174:175], s[28:29], -v[4:5]
	v_fma_f64 v[4:5], v[174:175], s[28:29], v[4:5]
	v_add_f64_e32 v[28:29], v[6:7], v[18:19]
	v_mul_f64_e32 v[6:7], s[30:31], v[152:153]
	s_delay_alu instid0(VALU_DEP_3) | instskip(NEXT) | instid1(VALU_DEP_2)
	v_add_f64_e32 v[4:5], v[4:5], v[16:17]
	v_fma_f64 v[8:9], v[176:177], s[28:29], v[6:7]
	v_fma_f64 v[6:7], v[176:177], s[28:29], -v[6:7]
	s_delay_alu instid0(VALU_DEP_2) | instskip(SKIP_1) | instid1(VALU_DEP_3)
	v_add_f64_e32 v[30:31], v[8:9], v[22:23]
	v_mul_f64_e32 v[8:9], s[38:39], v[154:155]
	v_add_f64_e32 v[6:7], v[6:7], v[20:21]
	s_delay_alu instid0(VALU_DEP_2) | instskip(SKIP_1) | instid1(VALU_DEP_2)
	v_fma_f64 v[10:11], v[174:175], s[22:23], -v[8:9]
	v_fma_f64 v[8:9], v[174:175], s[22:23], v[8:9]
	v_add_f64_e32 v[16:17], v[10:11], v[26:27]
	v_mul_f64_e32 v[10:11], s[38:39], v[152:153]
	s_delay_alu instid0(VALU_DEP_3) | instskip(NEXT) | instid1(VALU_DEP_2)
	v_add_f64_e32 v[8:9], v[8:9], v[24:25]
	v_fma_f64 v[12:13], v[176:177], s[22:23], v[10:11]
	v_fma_f64 v[10:11], v[176:177], s[22:23], -v[10:11]
	s_delay_alu instid0(VALU_DEP_2) | instskip(SKIP_1) | instid1(VALU_DEP_3)
	v_add_f64_e32 v[18:19], v[12:13], v[168:169]
	v_mul_f64_e32 v[12:13], s[26:27], v[154:155]
	v_add_f64_e32 v[10:11], v[10:11], v[160:161]
	v_add_f64_e64 v[160:161], v[172:173], -v[178:179]
	s_delay_alu instid0(VALU_DEP_3) | instskip(SKIP_1) | instid1(VALU_DEP_3)
	v_fma_f64 v[14:15], v[174:175], s[24:25], -v[12:13]
	v_fma_f64 v[12:13], v[174:175], s[24:25], v[12:13]
	v_mul_f64_e32 v[156:157], s[48:49], v[160:161]
	v_mul_f64_e32 v[168:169], s[34:35], v[160:161]
	v_mul_f64_e32 v[184:185], s[16:17], v[160:161]
	v_mul_f64_e32 v[192:193], s[26:27], v[160:161]
	v_mul_f64_e32 v[203:204], s[30:31], v[160:161]
	v_add_f64_e32 v[24:25], v[14:15], v[34:35]
	v_mul_f64_e32 v[14:15], s[26:27], v[152:153]
	v_add_f64_e32 v[12:13], v[12:13], v[32:33]
	s_delay_alu instid0(VALU_DEP_2) | instskip(SKIP_1) | instid1(VALU_DEP_2)
	v_fma_f64 v[20:21], v[176:177], s[24:25], v[14:15]
	v_fma_f64 v[14:15], v[176:177], s[24:25], -v[14:15]
	v_add_f64_e32 v[26:27], v[20:21], v[38:39]
	s_delay_alu instid0(VALU_DEP_2) | instskip(SKIP_2) | instid1(VALU_DEP_2)
	v_add_f64_e32 v[14:15], v[14:15], v[36:37]
	v_mul_f64_e32 v[20:21], s[36:37], v[154:155]
	v_mul_f64_e32 v[36:37], s[16:17], v[154:155]
	v_fma_f64 v[22:23], v[174:175], s[18:19], -v[20:21]
	v_fma_f64 v[20:21], v[174:175], s[18:19], v[20:21]
	s_delay_alu instid0(VALU_DEP_3) | instskip(SKIP_1) | instid1(VALU_DEP_4)
	v_fma_f64 v[38:39], v[174:175], s[14:15], -v[36:37]
	v_fma_f64 v[36:37], v[174:175], s[14:15], v[36:37]
	v_add_f64_e32 v[32:33], v[22:23], v[42:43]
	s_delay_alu instid0(VALU_DEP_4) | instskip(NEXT) | instid1(VALU_DEP_4)
	v_add_f64_e32 v[20:21], v[20:21], v[40:41]
	v_add_f64_e32 v[40:41], v[38:39], v[50:51]
	v_mul_f64_e32 v[38:39], s[16:17], v[152:153]
	v_mul_f64_e32 v[22:23], s[36:37], v[152:153]
	v_add_f64_e32 v[36:37], v[36:37], v[48:49]
	v_mul_f64_e32 v[48:49], s[20:21], v[154:155]
	v_mul_f64_e32 v[50:51], s[20:21], v[152:153]
	v_add_f64_e32 v[154:155], v[172:173], v[178:179]
	v_add_f64_e32 v[152:153], v[100:101], v[102:103]
	v_fma_f64 v[42:43], v[176:177], s[14:15], v[38:39]
	v_fma_f64 v[38:39], v[176:177], s[14:15], -v[38:39]
	v_fma_f64 v[34:35], v[176:177], s[18:19], v[22:23]
	v_fma_f64 v[22:23], v[176:177], s[18:19], -v[22:23]
	v_fma_f64 v[186:187], v[154:155], s[24:25], -v[190:191]
	v_fma_f64 v[180:181], v[152:153], s[14:15], v[184:185]
	v_fma_f64 v[184:185], v[152:153], s[14:15], -v[184:185]
	v_fma_f64 v[188:189], v[152:153], s[24:25], v[192:193]
	;; [unrolled: 2-line block ×3, first 2 shown]
	v_add_f64_e32 v[42:43], v[42:43], v[54:55]
	v_add_f64_e32 v[54:55], v[58:59], v[100:101]
	;; [unrolled: 1-line block ×6, first 2 shown]
	v_fma_f64 v[44:45], v[174:175], s[2:3], -v[48:49]
	v_fma_f64 v[46:47], v[176:177], s[2:3], v[50:51]
	v_fma_f64 v[48:49], v[174:175], s[2:3], v[48:49]
	v_fma_f64 v[50:51], v[176:177], s[2:3], -v[50:51]
	v_mul_f64_e32 v[176:177], s[40:41], v[160:161]
	v_mul_f64_e32 v[174:175], s[40:41], v[194:195]
	v_fma_f64 v[160:161], v[152:153], s[28:29], v[203:204]
	v_add_f64_e32 v[180:181], v[58:59], v[180:181]
	v_add_f64_e32 v[184:185], v[58:59], v[184:185]
	v_add_f64_e32 v[188:189], v[58:59], v[188:189]
	v_add_f64_e32 v[192:193], v[58:59], v[192:193]
	v_add_f64_e32 v[186:187], v[56:57], v[186:187]
	v_add_f64_e32 v[190:191], v[56:57], v[190:191]
	v_add_f64_e32 v[54:55], v[54:55], v[92:93]
	v_add_f64_e32 v[52:53], v[52:53], v[96:97]
	v_add_f64_e32 v[44:45], v[44:45], v[162:163]
	v_add_f64_e32 v[46:47], v[46:47], v[164:165]
	v_add_f64_e32 v[48:49], v[48:49], v[166:167]
	v_mul_f64_e32 v[166:167], s[34:35], v[194:195]
	v_fma_f64 v[164:165], v[152:153], s[18:19], v[168:169]
	v_fma_f64 v[168:169], v[152:153], s[18:19], -v[168:169]
	v_fma_f64 v[172:173], v[152:153], s[2:3], v[176:177]
	v_fma_f64 v[176:177], v[152:153], s[2:3], -v[176:177]
	v_add_f64_e32 v[50:51], v[50:51], v[170:171]
	v_fma_f64 v[170:171], v[154:155], s[2:3], -v[174:175]
	v_fma_f64 v[174:175], v[154:155], s[2:3], v[174:175]
	v_add_f64_e32 v[160:161], v[58:59], v[160:161]
	v_add_f64_e32 v[54:55], v[54:55], v[84:85]
	;; [unrolled: 1-line block ×3, first 2 shown]
	v_fma_f64 v[162:163], v[154:155], s[18:19], -v[166:167]
	v_add_f64_e32 v[164:165], v[58:59], v[164:165]
	v_fma_f64 v[166:167], v[154:155], s[18:19], v[166:167]
	v_add_f64_e32 v[168:169], v[58:59], v[168:169]
	v_add_f64_e32 v[172:173], v[58:59], v[172:173]
	;; [unrolled: 1-line block ×9, first 2 shown]
	s_delay_alu instid0(VALU_DEP_4) | instskip(NEXT) | instid1(VALU_DEP_4)
	v_add_f64_e32 v[54:55], v[54:55], v[68:69]
	v_add_f64_e32 v[52:53], v[52:53], v[72:73]
	s_delay_alu instid0(VALU_DEP_2) | instskip(NEXT) | instid1(VALU_DEP_2)
	v_add_f64_e32 v[54:55], v[54:55], v[60:61]
	v_add_f64_e32 v[52:53], v[52:53], v[64:65]
	s_delay_alu instid0(VALU_DEP_2) | instskip(NEXT) | instid1(VALU_DEP_2)
	v_add_f64_e32 v[54:55], v[54:55], v[62:63]
	v_add_f64_e32 v[52:53], v[52:53], v[66:67]
	s_delay_alu instid0(VALU_DEP_2) | instskip(NEXT) | instid1(VALU_DEP_2)
	v_add_f64_e32 v[54:55], v[54:55], v[70:71]
	v_add_f64_e32 v[52:53], v[52:53], v[74:75]
	s_delay_alu instid0(VALU_DEP_2) | instskip(NEXT) | instid1(VALU_DEP_2)
	v_add_f64_e32 v[54:55], v[54:55], v[78:79]
	v_add_f64_e32 v[52:53], v[52:53], v[82:83]
	s_delay_alu instid0(VALU_DEP_2) | instskip(NEXT) | instid1(VALU_DEP_2)
	v_add_f64_e32 v[54:55], v[54:55], v[86:87]
	v_add_f64_e32 v[52:53], v[52:53], v[90:91]
	s_delay_alu instid0(VALU_DEP_2) | instskip(NEXT) | instid1(VALU_DEP_2)
	v_add_f64_e32 v[54:55], v[54:55], v[94:95]
	v_add_f64_e32 v[52:53], v[52:53], v[98:99]
	s_delay_alu instid0(VALU_DEP_2) | instskip(SKIP_1) | instid1(VALU_DEP_3)
	v_add_f64_e32 v[54:55], v[54:55], v[102:103]
	v_mul_f64_e32 v[102:103], s[48:49], v[194:195]
	v_add_f64_e32 v[52:53], v[52:53], v[178:179]
	v_fma_f64 v[178:179], v[154:155], s[14:15], -v[182:183]
	v_fma_f64 v[182:183], v[154:155], s[14:15], v[182:183]
	v_fma_f64 v[194:195], v[154:155], s[28:29], -v[197:198]
	v_fma_f64 v[100:101], v[154:155], s[22:23], -v[102:103]
	v_fma_f64 v[102:103], v[154:155], s[22:23], v[102:103]
	v_fma_f64 v[154:155], v[154:155], s[28:29], v[197:198]
	v_add_f64_e32 v[178:179], v[56:57], v[178:179]
	v_add_f64_e32 v[182:183], v[56:57], v[182:183]
	;; [unrolled: 1-line block ×4, first 2 shown]
	v_fma_f64 v[100:101], v[152:153], s[22:23], v[156:157]
	v_fma_f64 v[156:157], v[152:153], s[22:23], -v[156:157]
	v_fma_f64 v[152:153], v[152:153], s[28:29], -v[203:204]
	s_wait_alu 0xfffd
	v_cndmask_b32_e32 v203, v224, v248, vcc_lo
	v_add_f64_e32 v[102:103], v[56:57], v[102:103]
	v_add_f64_e32 v[56:57], v[56:57], v[154:155]
	;; [unrolled: 1-line block ×3, first 2 shown]
	v_add_f64_e64 v[96:97], v[96:97], -v[98:99]
	v_add_f64_e32 v[100:101], v[58:59], v[100:101]
	v_add_f64_e32 v[156:157], v[58:59], v[156:157]
	v_add_f64_e32 v[58:59], v[58:59], v[152:153]
	v_add_f64_e32 v[152:153], v[92:93], v[94:95]
	v_add_f64_e64 v[92:93], v[92:93], -v[94:95]
	s_delay_alu instid0(VALU_DEP_1) | instskip(NEXT) | instid1(VALU_DEP_1)
	v_mul_f64_e32 v[94:95], s[34:35], v[92:93]
	v_fma_f64 v[98:99], v[154:155], s[18:19], -v[94:95]
	v_fma_f64 v[94:95], v[154:155], s[18:19], v[94:95]
	s_delay_alu instid0(VALU_DEP_2) | instskip(SKIP_1) | instid1(VALU_DEP_3)
	v_add_f64_e32 v[98:99], v[98:99], v[158:159]
	v_mul_f64_e32 v[158:159], s[34:35], v[96:97]
	v_add_f64_e32 v[94:95], v[94:95], v[102:103]
	s_delay_alu instid0(VALU_DEP_2) | instskip(SKIP_1) | instid1(VALU_DEP_2)
	v_fma_f64 v[102:103], v[152:153], s[18:19], -v[158:159]
	v_fma_f64 v[197:198], v[152:153], s[18:19], v[158:159]
	v_add_f64_e32 v[102:103], v[102:103], v[156:157]
	v_mul_f64_e32 v[156:157], s[16:17], v[92:93]
	s_delay_alu instid0(VALU_DEP_3) | instskip(NEXT) | instid1(VALU_DEP_2)
	v_add_f64_e32 v[100:101], v[197:198], v[100:101]
	v_fma_f64 v[158:159], v[154:155], s[14:15], -v[156:157]
	v_fma_f64 v[156:157], v[154:155], s[14:15], v[156:157]
	s_delay_alu instid0(VALU_DEP_2) | instskip(SKIP_1) | instid1(VALU_DEP_3)
	v_add_f64_e32 v[158:159], v[158:159], v[162:163]
	v_mul_f64_e32 v[162:163], s[16:17], v[96:97]
	v_add_f64_e32 v[156:157], v[156:157], v[166:167]
	v_mul_f64_e32 v[166:167], s[30:31], v[92:93]
	s_delay_alu instid0(VALU_DEP_3) | instskip(SKIP_1) | instid1(VALU_DEP_2)
	v_fma_f64 v[197:198], v[152:153], s[14:15], v[162:163]
	v_fma_f64 v[162:163], v[152:153], s[14:15], -v[162:163]
	v_add_f64_e32 v[164:165], v[197:198], v[164:165]
	s_delay_alu instid0(VALU_DEP_2) | instskip(SKIP_2) | instid1(VALU_DEP_2)
	v_add_f64_e32 v[162:163], v[162:163], v[168:169]
	v_fma_f64 v[168:169], v[154:155], s[28:29], -v[166:167]
	v_fma_f64 v[166:167], v[154:155], s[28:29], v[166:167]
	v_add_f64_e32 v[168:169], v[168:169], v[170:171]
	v_mul_f64_e32 v[170:171], s[30:31], v[96:97]
	s_delay_alu instid0(VALU_DEP_3) | instskip(SKIP_1) | instid1(VALU_DEP_3)
	v_add_f64_e32 v[166:167], v[166:167], v[174:175]
	v_mul_f64_e32 v[174:175], s[44:45], v[92:93]
	v_fma_f64 v[197:198], v[152:153], s[28:29], v[170:171]
	v_fma_f64 v[170:171], v[152:153], s[28:29], -v[170:171]
	s_delay_alu instid0(VALU_DEP_2) | instskip(NEXT) | instid1(VALU_DEP_2)
	v_add_f64_e32 v[172:173], v[197:198], v[172:173]
	v_add_f64_e32 v[170:171], v[170:171], v[176:177]
	v_fma_f64 v[176:177], v[154:155], s[24:25], -v[174:175]
	v_fma_f64 v[174:175], v[154:155], s[24:25], v[174:175]
	s_delay_alu instid0(VALU_DEP_2) | instskip(SKIP_1) | instid1(VALU_DEP_3)
	v_add_f64_e32 v[176:177], v[176:177], v[178:179]
	v_mul_f64_e32 v[178:179], s[44:45], v[96:97]
	v_add_f64_e32 v[174:175], v[174:175], v[182:183]
	v_mul_f64_e32 v[182:183], s[20:21], v[92:93]
	v_mul_f64_e32 v[92:93], s[38:39], v[92:93]
	s_delay_alu instid0(VALU_DEP_4) | instskip(SKIP_1) | instid1(VALU_DEP_2)
	v_fma_f64 v[197:198], v[152:153], s[24:25], v[178:179]
	v_fma_f64 v[178:179], v[152:153], s[24:25], -v[178:179]
	v_add_f64_e32 v[180:181], v[197:198], v[180:181]
	s_delay_alu instid0(VALU_DEP_2) | instskip(SKIP_2) | instid1(VALU_DEP_2)
	v_add_f64_e32 v[178:179], v[178:179], v[184:185]
	v_fma_f64 v[184:185], v[154:155], s[2:3], -v[182:183]
	v_fma_f64 v[182:183], v[154:155], s[2:3], v[182:183]
	v_add_f64_e32 v[184:185], v[184:185], v[186:187]
	v_mul_f64_e32 v[186:187], s[20:21], v[96:97]
	s_delay_alu instid0(VALU_DEP_3)
	v_add_f64_e32 v[182:183], v[182:183], v[190:191]
	v_fma_f64 v[190:191], v[154:155], s[22:23], -v[92:93]
	v_mul_f64_e32 v[96:97], s[38:39], v[96:97]
	v_fma_f64 v[92:93], v[154:155], s[22:23], v[92:93]
	v_fma_f64 v[197:198], v[152:153], s[2:3], v[186:187]
	v_fma_f64 v[186:187], v[152:153], s[2:3], -v[186:187]
	v_add_f64_e32 v[190:191], v[190:191], v[194:195]
	s_delay_alu instid0(VALU_DEP_4)
	v_add_f64_e32 v[56:57], v[92:93], v[56:57]
	v_fma_f64 v[92:93], v[152:153], s[22:23], -v[96:97]
	v_add_f64_e32 v[188:189], v[197:198], v[188:189]
	v_add_f64_e32 v[186:187], v[186:187], v[192:193]
	v_fma_f64 v[192:193], v[152:153], s[22:23], v[96:97]
	v_add_f64_e32 v[96:97], v[84:85], v[86:87]
	v_add_f64_e64 v[84:85], v[84:85], -v[86:87]
	v_add_f64_e32 v[58:59], v[92:93], v[58:59]
	v_add_f64_e32 v[92:93], v[88:89], v[90:91]
	v_add_f64_e64 v[88:89], v[88:89], -v[90:91]
	v_add_f64_e32 v[160:161], v[192:193], v[160:161]
	v_mul_f64_e32 v[86:87], s[40:41], v[84:85]
	s_delay_alu instid0(VALU_DEP_1) | instskip(SKIP_1) | instid1(VALU_DEP_2)
	v_fma_f64 v[90:91], v[92:93], s[2:3], -v[86:87]
	v_fma_f64 v[86:87], v[92:93], s[2:3], v[86:87]
	v_add_f64_e32 v[90:91], v[90:91], v[98:99]
	v_mul_f64_e32 v[98:99], s[40:41], v[88:89]
	s_delay_alu instid0(VALU_DEP_3) | instskip(NEXT) | instid1(VALU_DEP_2)
	v_add_f64_e32 v[86:87], v[86:87], v[94:95]
	v_fma_f64 v[152:153], v[96:97], s[2:3], v[98:99]
	v_fma_f64 v[94:95], v[96:97], s[2:3], -v[98:99]
	v_mul_f64_e32 v[98:99], s[30:31], v[84:85]
	s_delay_alu instid0(VALU_DEP_3) | instskip(NEXT) | instid1(VALU_DEP_3)
	v_add_f64_e32 v[100:101], v[152:153], v[100:101]
	v_add_f64_e32 v[94:95], v[94:95], v[102:103]
	s_delay_alu instid0(VALU_DEP_3) | instskip(SKIP_2) | instid1(VALU_DEP_3)
	v_fma_f64 v[102:103], v[92:93], s[28:29], -v[98:99]
	v_fma_f64 v[98:99], v[92:93], s[28:29], v[98:99]
	v_mul_f64_e32 v[152:153], s[30:31], v[88:89]
	v_add_f64_e32 v[102:103], v[102:103], v[158:159]
	s_delay_alu instid0(VALU_DEP_3) | instskip(SKIP_1) | instid1(VALU_DEP_4)
	v_add_f64_e32 v[98:99], v[98:99], v[156:157]
	v_mul_f64_e32 v[156:157], s[46:47], v[84:85]
	v_fma_f64 v[154:155], v[96:97], s[28:29], v[152:153]
	v_fma_f64 v[152:153], v[96:97], s[28:29], -v[152:153]
	s_delay_alu instid0(VALU_DEP_3) | instskip(SKIP_1) | instid1(VALU_DEP_3)
	v_fma_f64 v[158:159], v[92:93], s[14:15], -v[156:157]
	v_fma_f64 v[156:157], v[92:93], s[14:15], v[156:157]
	v_add_f64_e32 v[152:153], v[152:153], v[162:163]
	v_mul_f64_e32 v[162:163], s[46:47], v[88:89]
	v_add_f64_e32 v[154:155], v[154:155], v[164:165]
	v_add_f64_e32 v[158:159], v[158:159], v[168:169]
	;; [unrolled: 1-line block ×3, first 2 shown]
	v_mul_f64_e32 v[166:167], s[38:39], v[84:85]
	v_fma_f64 v[164:165], v[96:97], s[14:15], v[162:163]
	v_fma_f64 v[162:163], v[96:97], s[14:15], -v[162:163]
	s_delay_alu instid0(VALU_DEP_3) | instskip(SKIP_1) | instid1(VALU_DEP_3)
	v_fma_f64 v[168:169], v[92:93], s[22:23], -v[166:167]
	v_fma_f64 v[166:167], v[92:93], s[22:23], v[166:167]
	v_add_f64_e32 v[162:163], v[162:163], v[170:171]
	v_mul_f64_e32 v[170:171], s[38:39], v[88:89]
	v_add_f64_e32 v[164:165], v[164:165], v[172:173]
	v_add_f64_e32 v[168:169], v[168:169], v[176:177]
	;; [unrolled: 1-line block ×3, first 2 shown]
	v_mul_f64_e32 v[174:175], s[34:35], v[84:85]
	v_fma_f64 v[172:173], v[96:97], s[22:23], v[170:171]
	v_fma_f64 v[170:171], v[96:97], s[22:23], -v[170:171]
	v_mul_f64_e32 v[84:85], s[26:27], v[84:85]
	s_delay_alu instid0(VALU_DEP_4) | instskip(SKIP_1) | instid1(VALU_DEP_4)
	v_fma_f64 v[176:177], v[92:93], s[18:19], -v[174:175]
	v_fma_f64 v[174:175], v[92:93], s[18:19], v[174:175]
	v_add_f64_e32 v[170:171], v[170:171], v[178:179]
	v_mul_f64_e32 v[178:179], s[34:35], v[88:89]
	v_mul_f64_e32 v[88:89], s[26:27], v[88:89]
	v_add_f64_e32 v[172:173], v[172:173], v[180:181]
	v_add_f64_e32 v[176:177], v[176:177], v[184:185]
	;; [unrolled: 1-line block ×3, first 2 shown]
	v_fma_f64 v[182:183], v[92:93], s[24:25], -v[84:85]
	v_fma_f64 v[84:85], v[92:93], s[24:25], v[84:85]
	v_fma_f64 v[184:185], v[96:97], s[24:25], v[88:89]
	;; [unrolled: 1-line block ×3, first 2 shown]
	v_fma_f64 v[178:179], v[96:97], s[18:19], -v[178:179]
	v_add_f64_e32 v[182:183], v[182:183], v[190:191]
	v_add_f64_e32 v[56:57], v[84:85], v[56:57]
	v_fma_f64 v[84:85], v[96:97], s[24:25], -v[88:89]
	v_add_f64_e32 v[88:89], v[76:77], v[78:79]
	v_add_f64_e64 v[76:77], v[76:77], -v[78:79]
	v_add_f64_e32 v[178:179], v[178:179], v[186:187]
	v_add_f64_e32 v[180:181], v[180:181], v[188:189]
	;; [unrolled: 1-line block ×5, first 2 shown]
	v_mul_f64_e32 v[78:79], s[16:17], v[76:77]
	v_add_f64_e64 v[80:81], v[80:81], -v[82:83]
	s_delay_alu instid0(VALU_DEP_2) | instskip(SKIP_1) | instid1(VALU_DEP_3)
	v_fma_f64 v[82:83], v[84:85], s[14:15], -v[78:79]
	v_fma_f64 v[78:79], v[84:85], s[14:15], v[78:79]
	v_mul_f64_e32 v[96:97], s[44:45], v[80:81]
	s_delay_alu instid0(VALU_DEP_3) | instskip(SKIP_1) | instid1(VALU_DEP_4)
	v_add_f64_e32 v[82:83], v[82:83], v[90:91]
	v_mul_f64_e32 v[90:91], s[16:17], v[80:81]
	v_add_f64_e32 v[78:79], v[78:79], v[86:87]
	s_delay_alu instid0(VALU_DEP_2) | instskip(SKIP_2) | instid1(VALU_DEP_3)
	v_fma_f64 v[92:93], v[88:89], s[14:15], v[90:91]
	v_fma_f64 v[86:87], v[88:89], s[14:15], -v[90:91]
	v_mul_f64_e32 v[90:91], s[44:45], v[76:77]
	v_add_f64_e32 v[92:93], v[92:93], v[100:101]
	s_delay_alu instid0(VALU_DEP_3) | instskip(NEXT) | instid1(VALU_DEP_3)
	v_add_f64_e32 v[86:87], v[86:87], v[94:95]
	v_fma_f64 v[94:95], v[84:85], s[24:25], -v[90:91]
	v_fma_f64 v[90:91], v[84:85], s[24:25], v[90:91]
	v_fma_f64 v[100:101], v[88:89], s[24:25], v[96:97]
	v_fma_f64 v[96:97], v[88:89], s[24:25], -v[96:97]
	s_delay_alu instid0(VALU_DEP_4) | instskip(NEXT) | instid1(VALU_DEP_4)
	v_add_f64_e32 v[94:95], v[94:95], v[102:103]
	v_add_f64_e32 v[90:91], v[90:91], v[98:99]
	v_mul_f64_e32 v[98:99], s[38:39], v[76:77]
	s_delay_alu instid0(VALU_DEP_4) | instskip(SKIP_2) | instid1(VALU_DEP_4)
	v_add_f64_e32 v[96:97], v[96:97], v[152:153]
	v_mul_f64_e32 v[152:153], s[38:39], v[80:81]
	v_add_f64_e32 v[100:101], v[100:101], v[154:155]
	v_fma_f64 v[102:103], v[84:85], s[22:23], -v[98:99]
	v_fma_f64 v[98:99], v[84:85], s[22:23], v[98:99]
	s_delay_alu instid0(VALU_DEP_4) | instskip(SKIP_1) | instid1(VALU_DEP_4)
	v_fma_f64 v[154:155], v[88:89], s[22:23], v[152:153]
	v_fma_f64 v[152:153], v[88:89], s[22:23], -v[152:153]
	v_add_f64_e32 v[102:103], v[102:103], v[158:159]
	s_delay_alu instid0(VALU_DEP_4) | instskip(SKIP_1) | instid1(VALU_DEP_4)
	v_add_f64_e32 v[98:99], v[98:99], v[156:157]
	v_mul_f64_e32 v[156:157], s[40:41], v[76:77]
	v_add_f64_e32 v[152:153], v[152:153], v[162:163]
	v_mul_f64_e32 v[162:163], s[40:41], v[80:81]
	v_add_f64_e32 v[154:155], v[154:155], v[164:165]
	s_delay_alu instid0(VALU_DEP_4) | instskip(SKIP_1) | instid1(VALU_DEP_4)
	v_fma_f64 v[158:159], v[84:85], s[2:3], -v[156:157]
	v_fma_f64 v[156:157], v[84:85], s[2:3], v[156:157]
	v_fma_f64 v[164:165], v[88:89], s[2:3], v[162:163]
	v_fma_f64 v[162:163], v[88:89], s[2:3], -v[162:163]
	s_delay_alu instid0(VALU_DEP_4) | instskip(NEXT) | instid1(VALU_DEP_4)
	v_add_f64_e32 v[158:159], v[158:159], v[168:169]
	v_add_f64_e32 v[156:157], v[156:157], v[166:167]
	v_mul_f64_e32 v[166:167], s[42:43], v[76:77]
	v_mul_f64_e32 v[76:77], s[36:37], v[76:77]
	v_add_f64_e32 v[162:163], v[162:163], v[170:171]
	v_mul_f64_e32 v[170:171], s[42:43], v[80:81]
	v_mul_f64_e32 v[80:81], s[36:37], v[80:81]
	v_add_f64_e32 v[164:165], v[164:165], v[172:173]
	v_fma_f64 v[168:169], v[84:85], s[28:29], -v[166:167]
	v_fma_f64 v[166:167], v[84:85], s[28:29], v[166:167]
	v_fma_f64 v[172:173], v[88:89], s[28:29], v[170:171]
	v_fma_f64 v[170:171], v[88:89], s[28:29], -v[170:171]
	s_delay_alu instid0(VALU_DEP_4) | instskip(NEXT) | instid1(VALU_DEP_4)
	v_add_f64_e32 v[168:169], v[168:169], v[176:177]
	v_add_f64_e32 v[166:167], v[166:167], v[174:175]
	v_fma_f64 v[174:175], v[84:85], s[18:19], -v[76:77]
	v_fma_f64 v[76:77], v[84:85], s[18:19], v[76:77]
	v_fma_f64 v[176:177], v[88:89], s[18:19], v[80:81]
	v_add_f64_e32 v[170:171], v[170:171], v[178:179]
	v_add_f64_e32 v[172:173], v[172:173], v[180:181]
	;; [unrolled: 1-line block ×4, first 2 shown]
	v_fma_f64 v[76:77], v[88:89], s[18:19], -v[80:81]
	v_add_f64_e32 v[88:89], v[68:69], v[70:71]
	v_add_f64_e64 v[68:69], v[68:69], -v[70:71]
	v_add_f64_e32 v[160:161], v[176:177], v[160:161]
	s_delay_alu instid0(VALU_DEP_4) | instskip(SKIP_3) | instid1(VALU_DEP_2)
	v_add_f64_e32 v[58:59], v[76:77], v[58:59]
	v_add_f64_e32 v[76:77], v[72:73], v[74:75]
	v_add_f64_e64 v[72:73], v[72:73], -v[74:75]
	v_mul_f64_e32 v[70:71], s[26:27], v[68:69]
	v_mul_f64_e32 v[80:81], s[26:27], v[72:73]
	s_delay_alu instid0(VALU_DEP_2) | instskip(SKIP_1) | instid1(VALU_DEP_2)
	v_fma_f64 v[74:75], v[76:77], s[24:25], -v[70:71]
	v_fma_f64 v[70:71], v[76:77], s[24:25], v[70:71]
	v_add_f64_e32 v[74:75], v[74:75], v[82:83]
	s_delay_alu instid0(VALU_DEP_2) | instskip(SKIP_2) | instid1(VALU_DEP_2)
	v_add_f64_e32 v[70:71], v[70:71], v[78:79]
	v_fma_f64 v[78:79], v[88:89], s[24:25], -v[80:81]
	v_fma_f64 v[82:83], v[88:89], s[24:25], v[80:81]
	v_add_f64_e32 v[178:179], v[78:79], v[86:87]
	v_mul_f64_e32 v[78:79], s[20:21], v[68:69]
	s_delay_alu instid0(VALU_DEP_3) | instskip(NEXT) | instid1(VALU_DEP_2)
	v_add_f64_e32 v[176:177], v[82:83], v[92:93]
	v_fma_f64 v[80:81], v[76:77], s[2:3], -v[78:79]
	v_fma_f64 v[78:79], v[76:77], s[2:3], v[78:79]
	s_delay_alu instid0(VALU_DEP_2) | instskip(SKIP_1) | instid1(VALU_DEP_3)
	v_add_f64_e32 v[180:181], v[80:81], v[94:95]
	v_mul_f64_e32 v[80:81], s[20:21], v[72:73]
	v_add_f64_e32 v[182:183], v[78:79], v[90:91]
	s_delay_alu instid0(VALU_DEP_2) | instskip(SKIP_1) | instid1(VALU_DEP_2)
	v_fma_f64 v[78:79], v[88:89], s[2:3], -v[80:81]
	v_fma_f64 v[82:83], v[88:89], s[2:3], v[80:81]
	v_add_f64_e32 v[184:185], v[78:79], v[96:97]
	v_mul_f64_e32 v[78:79], s[34:35], v[68:69]
	s_delay_alu instid0(VALU_DEP_3) | instskip(NEXT) | instid1(VALU_DEP_2)
	v_add_f64_e32 v[100:101], v[82:83], v[100:101]
	v_fma_f64 v[80:81], v[76:77], s[18:19], -v[78:79]
	v_fma_f64 v[78:79], v[76:77], s[18:19], v[78:79]
	s_delay_alu instid0(VALU_DEP_2) | instskip(SKIP_1) | instid1(VALU_DEP_3)
	v_add_f64_e32 v[102:103], v[80:81], v[102:103]
	v_mul_f64_e32 v[80:81], s[34:35], v[72:73]
	v_add_f64_e32 v[186:187], v[78:79], v[98:99]
	v_add_f64_e64 v[98:99], v[60:61], -v[62:63]
	s_delay_alu instid0(VALU_DEP_3) | instskip(SKIP_1) | instid1(VALU_DEP_2)
	v_fma_f64 v[78:79], v[88:89], s[18:19], -v[80:81]
	v_fma_f64 v[82:83], v[88:89], s[18:19], v[80:81]
	v_add_f64_e32 v[152:153], v[78:79], v[152:153]
	v_mul_f64_e32 v[78:79], s[42:43], v[68:69]
	s_delay_alu instid0(VALU_DEP_3) | instskip(NEXT) | instid1(VALU_DEP_2)
	v_add_f64_e32 v[154:155], v[82:83], v[154:155]
	v_fma_f64 v[80:81], v[76:77], s[28:29], -v[78:79]
	v_fma_f64 v[78:79], v[76:77], s[28:29], v[78:79]
	s_delay_alu instid0(VALU_DEP_2) | instskip(SKIP_1) | instid1(VALU_DEP_3)
	v_add_f64_e32 v[158:159], v[80:81], v[158:159]
	v_mul_f64_e32 v[80:81], s[42:43], v[72:73]
	v_add_f64_e32 v[156:157], v[78:79], v[156:157]
	s_delay_alu instid0(VALU_DEP_2) | instskip(SKIP_1) | instid1(VALU_DEP_2)
	v_fma_f64 v[78:79], v[88:89], s[28:29], -v[80:81]
	v_fma_f64 v[82:83], v[88:89], s[28:29], v[80:81]
	v_add_f64_e32 v[162:163], v[78:79], v[162:163]
	v_mul_f64_e32 v[78:79], s[38:39], v[68:69]
	v_mul_f64_e32 v[68:69], s[16:17], v[68:69]
	s_delay_alu instid0(VALU_DEP_4) | instskip(NEXT) | instid1(VALU_DEP_3)
	v_add_f64_e32 v[164:165], v[82:83], v[164:165]
	v_fma_f64 v[80:81], v[76:77], s[22:23], -v[78:79]
	v_fma_f64 v[78:79], v[76:77], s[22:23], v[78:79]
	s_delay_alu instid0(VALU_DEP_2) | instskip(SKIP_1) | instid1(VALU_DEP_3)
	v_add_f64_e32 v[96:97], v[80:81], v[168:169]
	v_mul_f64_e32 v[80:81], s[38:39], v[72:73]
	v_add_f64_e32 v[92:93], v[78:79], v[166:167]
	v_mul_f64_e32 v[72:73], s[16:17], v[72:73]
	s_delay_alu instid0(VALU_DEP_3) | instskip(SKIP_1) | instid1(VALU_DEP_2)
	v_fma_f64 v[78:79], v[88:89], s[22:23], -v[80:81]
	v_fma_f64 v[82:83], v[88:89], s[22:23], v[80:81]
	v_add_f64_e32 v[90:91], v[78:79], v[170:171]
	v_fma_f64 v[78:79], v[76:77], s[14:15], -v[68:69]
	v_fma_f64 v[68:69], v[76:77], s[14:15], v[68:69]
	s_delay_alu instid0(VALU_DEP_4) | instskip(SKIP_1) | instid1(VALU_DEP_4)
	v_add_f64_e32 v[94:95], v[82:83], v[172:173]
	v_add_f64_e32 v[82:83], v[64:65], v[66:67]
	;; [unrolled: 1-line block ×3, first 2 shown]
	v_fma_f64 v[78:79], v[88:89], s[14:15], v[72:73]
	v_add_f64_e32 v[80:81], v[68:69], v[56:57]
	v_fma_f64 v[56:57], v[88:89], s[14:15], -v[72:73]
	v_add_f64_e64 v[88:89], v[64:65], -v[66:67]
	v_mul_f64_e32 v[68:69], s[38:39], v[98:99]
	v_add_f64_e32 v[84:85], v[78:79], v[160:161]
	v_add_f64_e32 v[78:79], v[60:61], v[62:63]
	v_mul_f64_e32 v[60:61], s[30:31], v[98:99]
	v_add_f64_e32 v[76:77], v[56:57], v[58:59]
	v_mul_f64_e32 v[160:161], s[36:37], v[98:99]
	v_mul_f64_e32 v[62:63], s[30:31], v[88:89]
	v_fma_f64 v[64:65], v[82:83], s[22:23], -v[68:69]
	v_fma_f64 v[68:69], v[82:83], s[22:23], v[68:69]
	v_fma_f64 v[56:57], v[82:83], s[28:29], -v[60:61]
	v_fma_f64 v[60:61], v[82:83], s[28:29], v[60:61]
	v_fma_f64 v[58:59], v[78:79], s[28:29], v[62:63]
	v_fma_f64 v[62:63], v[78:79], s[28:29], -v[62:63]
	v_add_f64_e32 v[64:65], v[64:65], v[180:181]
	v_add_f64_e32 v[68:69], v[68:69], v[182:183]
	;; [unrolled: 1-line block ×4, first 2 shown]
	v_mul_f64_e32 v[70:71], s[38:39], v[88:89]
	v_add_f64_e32 v[58:59], v[58:59], v[176:177]
	v_add_f64_e32 v[62:63], v[62:63], v[178:179]
	s_delay_alu instid0(VALU_DEP_3) | instskip(SKIP_1) | instid1(VALU_DEP_2)
	v_fma_f64 v[66:67], v[78:79], s[22:23], v[70:71]
	v_fma_f64 v[70:71], v[78:79], s[22:23], -v[70:71]
	v_add_f64_e32 v[66:67], v[66:67], v[100:101]
	v_mul_f64_e32 v[100:101], s[26:27], v[98:99]
	s_delay_alu instid0(VALU_DEP_3) | instskip(NEXT) | instid1(VALU_DEP_2)
	v_add_f64_e32 v[70:71], v[70:71], v[184:185]
	v_fma_f64 v[72:73], v[82:83], s[24:25], -v[100:101]
	v_fma_f64 v[100:101], v[82:83], s[24:25], v[100:101]
	s_delay_alu instid0(VALU_DEP_2) | instskip(SKIP_1) | instid1(VALU_DEP_3)
	v_add_f64_e32 v[72:73], v[72:73], v[102:103]
	v_mul_f64_e32 v[102:103], s[26:27], v[88:89]
	v_add_f64_e32 v[100:101], v[100:101], v[186:187]
	s_delay_alu instid0(VALU_DEP_2) | instskip(SKIP_1) | instid1(VALU_DEP_2)
	v_fma_f64 v[74:75], v[78:79], s[24:25], v[102:103]
	v_fma_f64 v[102:103], v[78:79], s[24:25], -v[102:103]
	v_add_f64_e32 v[74:75], v[74:75], v[154:155]
	s_delay_alu instid0(VALU_DEP_2) | instskip(SKIP_2) | instid1(VALU_DEP_2)
	v_add_f64_e32 v[102:103], v[102:103], v[152:153]
	v_fma_f64 v[152:153], v[82:83], s[18:19], -v[160:161]
	v_fma_f64 v[160:161], v[82:83], s[18:19], v[160:161]
	v_add_f64_e32 v[152:153], v[152:153], v[158:159]
	v_mul_f64_e32 v[158:159], s[36:37], v[88:89]
	s_delay_alu instid0(VALU_DEP_3) | instskip(NEXT) | instid1(VALU_DEP_2)
	v_add_f64_e32 v[156:157], v[160:161], v[156:157]
	v_fma_f64 v[154:155], v[78:79], s[18:19], v[158:159]
	v_fma_f64 v[158:159], v[78:79], s[18:19], -v[158:159]
	s_delay_alu instid0(VALU_DEP_2) | instskip(SKIP_1) | instid1(VALU_DEP_3)
	v_add_f64_e32 v[154:155], v[154:155], v[164:165]
	v_mul_f64_e32 v[164:165], s[16:17], v[98:99]
	v_add_f64_e32 v[158:159], v[158:159], v[162:163]
	s_delay_alu instid0(VALU_DEP_2) | instskip(NEXT) | instid1(VALU_DEP_1)
	v_fma_f64 v[160:161], v[82:83], s[14:15], -v[164:165]
	v_add_f64_e32 v[160:161], v[160:161], v[96:97]
	v_mul_f64_e32 v[96:97], s[16:17], v[88:89]
	s_delay_alu instid0(VALU_DEP_1) | instskip(NEXT) | instid1(VALU_DEP_1)
	v_fma_f64 v[162:163], v[78:79], s[14:15], v[96:97]
	v_add_f64_e32 v[162:163], v[162:163], v[94:95]
	v_fma_f64 v[94:95], v[82:83], s[14:15], v[164:165]
	s_delay_alu instid0(VALU_DEP_1) | instskip(SKIP_1) | instid1(VALU_DEP_1)
	v_add_f64_e32 v[92:93], v[94:95], v[92:93]
	v_fma_f64 v[94:95], v[78:79], s[14:15], -v[96:97]
	v_add_f64_e32 v[94:95], v[94:95], v[90:91]
	v_mul_f64_e32 v[90:91], s[20:21], v[98:99]
	s_delay_alu instid0(VALU_DEP_1) | instskip(SKIP_1) | instid1(VALU_DEP_2)
	v_fma_f64 v[96:97], v[82:83], s[2:3], -v[90:91]
	v_fma_f64 v[82:83], v[82:83], s[2:3], v[90:91]
	v_add_f64_e32 v[86:87], v[96:97], v[86:87]
	v_mul_f64_e32 v[96:97], s[20:21], v[88:89]
	s_delay_alu instid0(VALU_DEP_3) | instskip(NEXT) | instid1(VALU_DEP_2)
	v_add_f64_e32 v[80:81], v[82:83], v[80:81]
	v_fma_f64 v[88:89], v[78:79], s[2:3], v[96:97]
	v_fma_f64 v[78:79], v[78:79], s[2:3], -v[96:97]
	s_delay_alu instid0(VALU_DEP_2) | instskip(NEXT) | instid1(VALU_DEP_2)
	v_add_f64_e32 v[88:89], v[88:89], v[84:85]
	v_add_f64_e32 v[82:83], v[78:79], v[76:77]
	v_lshrrev_b32_e32 v76, 1, v248
	s_delay_alu instid0(VALU_DEP_1) | instskip(NEXT) | instid1(VALU_DEP_1)
	v_mul_u32_u24_e32 v76, 26, v76
	v_or_b32_e32 v76, v76, v196
	s_delay_alu instid0(VALU_DEP_1)
	v_lshlrev_b32_e32 v236, 4, v76
	ds_store_b128 v236, v[0:3]
	ds_store_b128 v236, v[28:31] offset:32
	ds_store_b128 v236, v[16:19] offset:64
	;; [unrolled: 1-line block ×12, first 2 shown]
	v_lshrrev_b32_e32 v0, 1, v202
	s_delay_alu instid0(VALU_DEP_1) | instskip(NEXT) | instid1(VALU_DEP_1)
	v_mul_u32_u24_e32 v0, 26, v0
	v_or_b32_e32 v0, v0, v196
	s_delay_alu instid0(VALU_DEP_1)
	v_lshlrev_b32_e32 v235, 4, v0
	ds_store_b128 v235, v[52:55]
	ds_store_b128 v235, v[56:59] offset:32
	ds_store_b128 v235, v[64:67] offset:64
	;; [unrolled: 1-line block ×12, first 2 shown]
	v_mul_i32_i24_e32 v152, 0xc0, v203
	v_mul_hi_i32_i24_e32 v153, 0xc0, v203
	global_wb scope:SCOPE_SE
	s_wait_dscnt 0x0
	s_barrier_signal -1
	s_barrier_wait -1
	v_add_co_u32 v152, s0, s10, v152
	s_wait_alu 0xf1ff
	v_add_co_ci_u32_e64 v153, s0, s11, v153, s0
	global_inv scope:SCOPE_SE
	ds_load_b128 v[8:11], v234
	ds_load_b128 v[88:91], v234 offset:1664
	ds_load_b128 v[92:95], v234 offset:3328
	ds_load_b128 v[96:99], v234 offset:4992
	ds_load_b128 v[100:103], v234 offset:6656
	ds_load_b128 v[84:87], v234 offset:8320
	ds_load_b128 v[80:83], v234 offset:9984
	ds_load_b128 v[76:79], v234 offset:11648
	ds_load_b128 v[72:75], v234 offset:13312
	ds_load_b128 v[68:71], v234 offset:14976
	ds_load_b128 v[64:67], v234 offset:16640
	ds_load_b128 v[56:59], v234 offset:18304
	ds_load_b128 v[52:55], v234 offset:19968
	ds_load_b128 v[60:63], v234 offset:832
	ds_load_b128 v[48:51], v234 offset:2496
	ds_load_b128 v[44:47], v234 offset:4160
	ds_load_b128 v[40:43], v234 offset:5824
	ds_load_b128 v[36:39], v234 offset:7488
	ds_load_b128 v[32:35], v234 offset:9152
	ds_load_b128 v[28:31], v234 offset:10816
	ds_load_b128 v[24:27], v234 offset:12480
	ds_load_b128 v[0:3], v234 offset:14144
	ds_load_b128 v[20:23], v234 offset:15808
	ds_load_b128 v[16:19], v234 offset:17472
	ds_load_b128 v[12:15], v234 offset:19136
	ds_load_b128 v[4:7], v234 offset:20800
	s_clause 0x3
	global_load_b128 v[160:163], v[152:153], off offset:432
	global_load_b128 v[156:159], v[152:153], off offset:416
	;; [unrolled: 1-line block ×4, first 2 shown]
	v_cmp_lt_u16_e64 s0, 25, v200
	s_wait_loadcnt 0x3
	scratch_store_b128 off, v[160:163], off offset:464 ; 16-byte Folded Spill
	s_wait_loadcnt 0x2
	scratch_store_b128 off, v[156:159], off offset:480 ; 16-byte Folded Spill
	s_wait_loadcnt 0x1
	scratch_store_b128 off, v[164:167], off offset:496 ; 16-byte Folded Spill
	s_wait_loadcnt_dscnt 0x18
	v_mul_f64_e32 v[154:155], v[90:91], v[170:171]
	scratch_store_b128 off, v[168:171], off offset:560 ; 16-byte Folded Spill
	v_fma_f64 v[205:206], v[88:89], v[168:169], -v[154:155]
	v_mul_f64_e32 v[88:89], v[88:89], v[170:171]
	s_delay_alu instid0(VALU_DEP_1) | instskip(SKIP_2) | instid1(VALU_DEP_1)
	v_fma_f64 v[198:199], v[90:91], v[168:169], v[88:89]
	s_wait_dscnt 0x17
	v_mul_f64_e32 v[88:89], v[94:95], v[166:167]
	v_fma_f64 v[182:183], v[92:93], v[164:165], -v[88:89]
	v_mul_f64_e32 v[88:89], v[92:93], v[166:167]
	s_delay_alu instid0(VALU_DEP_1) | instskip(SKIP_2) | instid1(VALU_DEP_1)
	v_fma_f64 v[184:185], v[94:95], v[164:165], v[88:89]
	s_wait_dscnt 0x16
	v_mul_f64_e32 v[88:89], v[98:99], v[158:159]
	;; [unrolled: 6-line block ×3, first 2 shown]
	v_fma_f64 v[158:159], v[100:101], v[160:161], -v[88:89]
	v_mul_f64_e32 v[88:89], v[100:101], v[162:163]
	s_clause 0x3
	global_load_b128 v[90:93], v[152:153], off offset:496
	global_load_b128 v[94:97], v[152:153], off offset:480
	;; [unrolled: 1-line block ×4, first 2 shown]
	v_fma_f64 v[160:161], v[102:103], v[160:161], v[88:89]
	s_wait_loadcnt 0x3
	scratch_store_b128 off, v[90:93], off offset:512 ; 16-byte Folded Spill
	s_wait_loadcnt 0x2
	scratch_store_b128 off, v[94:97], off offset:528 ; 16-byte Folded Spill
	;; [unrolled: 2-line block ×3, first 2 shown]
	s_wait_loadcnt_dscnt 0x14
	v_mul_f64_e32 v[88:89], v[86:87], v[156:157]
	scratch_store_b128 off, v[154:157], off offset:576 ; 16-byte Folded Spill
	v_fma_f64 v[168:169], v[84:85], v[154:155], -v[88:89]
	v_mul_f64_e32 v[84:85], v[84:85], v[156:157]
	s_delay_alu instid0(VALU_DEP_1) | instskip(SKIP_2) | instid1(VALU_DEP_1)
	v_fma_f64 v[170:171], v[86:87], v[154:155], v[84:85]
	s_wait_dscnt 0x13
	v_mul_f64_e32 v[84:85], v[82:83], v[100:101]
	v_fma_f64 v[156:157], v[80:81], v[98:99], -v[84:85]
	v_mul_f64_e32 v[80:81], v[80:81], v[100:101]
	s_delay_alu instid0(VALU_DEP_1) | instskip(SKIP_2) | instid1(VALU_DEP_1)
	v_fma_f64 v[162:163], v[82:83], v[98:99], v[80:81]
	s_wait_dscnt 0x12
	v_mul_f64_e32 v[80:81], v[78:79], v[96:97]
	;; [unrolled: 6-line block ×3, first 2 shown]
	v_fma_f64 v[178:179], v[72:73], v[90:91], -v[76:77]
	v_mul_f64_e32 v[72:73], v[72:73], v[92:93]
	s_delay_alu instid0(VALU_DEP_1)
	v_fma_f64 v[180:181], v[74:75], v[90:91], v[72:73]
	s_clause 0x3
	global_load_b128 v[74:77], v[152:153], off offset:560
	global_load_b128 v[78:81], v[152:153], off offset:544
	;; [unrolled: 1-line block ×4, first 2 shown]
	s_wait_loadcnt 0x3
	scratch_store_b128 off, v[74:77], off offset:592 ; 16-byte Folded Spill
	s_wait_loadcnt 0x2
	scratch_store_b128 off, v[78:81], off offset:608 ; 16-byte Folded Spill
	;; [unrolled: 2-line block ×3, first 2 shown]
	s_wait_loadcnt_dscnt 0x10
	v_mul_f64_e32 v[72:73], v[70:71], v[88:89]
	scratch_store_b128 off, v[86:89], off offset:640 ; 16-byte Folded Spill
	v_fma_f64 v[186:187], v[68:69], v[86:87], -v[72:73]
	v_mul_f64_e32 v[68:69], v[68:69], v[88:89]
	s_delay_alu instid0(VALU_DEP_1) | instskip(SKIP_2) | instid1(VALU_DEP_1)
	v_fma_f64 v[188:189], v[70:71], v[86:87], v[68:69]
	s_wait_dscnt 0xf
	v_mul_f64_e32 v[68:69], v[66:67], v[84:85]
	v_fma_f64 v[192:193], v[64:65], v[82:83], -v[68:69]
	v_mul_f64_e32 v[64:65], v[64:65], v[84:85]
	s_delay_alu instid0(VALU_DEP_1) | instskip(SKIP_2) | instid1(VALU_DEP_1)
	v_fma_f64 v[194:195], v[66:67], v[82:83], v[64:65]
	s_wait_dscnt 0xe
	v_mul_f64_e32 v[64:65], v[58:59], v[80:81]
	;; [unrolled: 6-line block ×3, first 2 shown]
	v_fma_f64 v[58:59], v[52:53], v[74:75], -v[58:59]
	v_mul_f64_e32 v[52:53], v[52:53], v[76:77]
	s_delay_alu instid0(VALU_DEP_1) | instskip(SKIP_1) | instid1(VALU_DEP_1)
	v_fma_f64 v[52:53], v[54:55], v[74:75], v[52:53]
	v_and_b32_e32 v54, 0xff, v202
	v_mul_lo_u16 v54, 0x4f, v54
	s_delay_alu instid0(VALU_DEP_1) | instskip(NEXT) | instid1(VALU_DEP_1)
	v_lshrrev_b16 v204, 11, v54
	v_mul_lo_u16 v54, v204, 26
	s_delay_alu instid0(VALU_DEP_1) | instskip(NEXT) | instid1(VALU_DEP_1)
	v_sub_nc_u16 v54, v202, v54
	v_and_b32_e32 v202, 0xff, v54
	s_delay_alu instid0(VALU_DEP_1)
	v_mad_co_u64_u32 v[54:55], null, 0xc0, v202, s[10:11]
	s_clause 0x3
	global_load_b128 v[66:69], v[54:55], off offset:432
	global_load_b128 v[70:73], v[54:55], off offset:416
	global_load_b128 v[74:77], v[54:55], off offset:400
	global_load_b128 v[78:81], v[54:55], off offset:384
	s_wait_loadcnt 0x3
	scratch_store_b128 off, v[66:69], off offset:656 ; 16-byte Folded Spill
	s_wait_loadcnt 0x2
	scratch_store_b128 off, v[70:73], off offset:672 ; 16-byte Folded Spill
	;; [unrolled: 2-line block ×3, first 2 shown]
	s_wait_loadcnt_dscnt 0xb
	v_mul_f64_e32 v[64:65], v[50:51], v[80:81]
	scratch_store_b128 off, v[78:81], off offset:704 ; 16-byte Folded Spill
	v_fma_f64 v[176:177], v[48:49], v[78:79], -v[64:65]
	v_mul_f64_e32 v[48:49], v[48:49], v[80:81]
	s_delay_alu instid0(VALU_DEP_1) | instskip(SKIP_2) | instid1(VALU_DEP_1)
	v_fma_f64 v[152:153], v[50:51], v[78:79], v[48:49]
	s_wait_dscnt 0xa
	v_mul_f64_e32 v[48:49], v[46:47], v[76:77]
	v_fma_f64 v[100:101], v[44:45], v[74:75], -v[48:49]
	v_mul_f64_e32 v[44:45], v[44:45], v[76:77]
	s_delay_alu instid0(VALU_DEP_1) | instskip(SKIP_2) | instid1(VALU_DEP_1)
	v_fma_f64 v[94:95], v[46:47], v[74:75], v[44:45]
	s_wait_dscnt 0x9
	v_mul_f64_e32 v[44:45], v[42:43], v[72:73]
	;; [unrolled: 6-line block ×3, first 2 shown]
	v_fma_f64 v[82:83], v[36:37], v[66:67], -v[40:41]
	v_mul_f64_e32 v[36:37], v[36:37], v[68:69]
	s_delay_alu instid0(VALU_DEP_1)
	v_fma_f64 v[80:81], v[38:39], v[66:67], v[36:37]
	s_clause 0x3
	global_load_b128 v[38:41], v[54:55], off offset:496
	global_load_b128 v[42:45], v[54:55], off offset:480
	;; [unrolled: 1-line block ×4, first 2 shown]
	s_wait_loadcnt 0x3
	scratch_store_b128 off, v[38:41], off offset:720 ; 16-byte Folded Spill
	s_wait_loadcnt 0x2
	scratch_store_b128 off, v[42:45], off offset:736 ; 16-byte Folded Spill
	;; [unrolled: 2-line block ×3, first 2 shown]
	s_wait_loadcnt_dscnt 0x7
	v_mul_f64_e32 v[36:37], v[34:35], v[66:67]
	scratch_store_b128 off, v[64:67], off offset:768 ; 16-byte Folded Spill
	v_fma_f64 v[76:77], v[32:33], v[64:65], -v[36:37]
	v_mul_f64_e32 v[32:33], v[32:33], v[66:67]
	s_delay_alu instid0(VALU_DEP_1) | instskip(SKIP_2) | instid1(VALU_DEP_1)
	v_fma_f64 v[72:73], v[34:35], v[64:65], v[32:33]
	s_wait_dscnt 0x6
	v_mul_f64_e32 v[32:33], v[30:31], v[48:49]
	v_fma_f64 v[68:69], v[28:29], v[46:47], -v[32:33]
	v_mul_f64_e32 v[28:29], v[28:29], v[48:49]
	s_delay_alu instid0(VALU_DEP_1) | instskip(SKIP_2) | instid1(VALU_DEP_1)
	v_fma_f64 v[64:65], v[30:31], v[46:47], v[28:29]
	s_wait_dscnt 0x5
	v_mul_f64_e32 v[28:29], v[26:27], v[44:45]
	;; [unrolled: 6-line block ×3, first 2 shown]
	v_fma_f64 v[78:79], v[0:1], v[38:39], -v[24:25]
	v_mul_f64_e32 v[0:1], v[0:1], v[40:41]
	s_delay_alu instid0(VALU_DEP_1)
	v_fma_f64 v[74:75], v[2:3], v[38:39], v[0:1]
	s_clause 0x3
	global_load_b128 v[24:27], v[54:55], off offset:560
	global_load_b128 v[28:31], v[54:55], off offset:544
	;; [unrolled: 1-line block ×4, first 2 shown]
	v_add_f64_e32 v[2:3], v[10:11], v[198:199]
	s_delay_alu instid0(VALU_DEP_1) | instskip(NEXT) | instid1(VALU_DEP_1)
	v_add_f64_e32 v[2:3], v[2:3], v[184:185]
	v_add_f64_e32 v[2:3], v[2:3], v[174:175]
	s_delay_alu instid0(VALU_DEP_1) | instskip(NEXT) | instid1(VALU_DEP_1)
	v_add_f64_e32 v[2:3], v[2:3], v[160:161]
	v_add_f64_e32 v[2:3], v[2:3], v[170:171]
	s_delay_alu instid0(VALU_DEP_1) | instskip(NEXT) | instid1(VALU_DEP_1)
	v_add_f64_e32 v[2:3], v[2:3], v[162:163]
	v_add_f64_e32 v[2:3], v[2:3], v[166:167]
	s_delay_alu instid0(VALU_DEP_1) | instskip(NEXT) | instid1(VALU_DEP_1)
	v_add_f64_e32 v[2:3], v[2:3], v[180:181]
	v_add_f64_e32 v[2:3], v[2:3], v[188:189]
	s_wait_loadcnt 0x3
	scratch_store_b128 off, v[24:27], off offset:784 ; 16-byte Folded Spill
	s_wait_loadcnt 0x2
	scratch_store_b128 off, v[28:31], off offset:800 ; 16-byte Folded Spill
	;; [unrolled: 2-line block ×3, first 2 shown]
	s_wait_loadcnt_dscnt 0x3
	v_mul_f64_e32 v[0:1], v[22:23], v[38:39]
	scratch_store_b128 off, v[36:39], off offset:832 ; 16-byte Folded Spill
	global_wb scope:SCOPE_SE
	s_wait_storecnt_dscnt 0x0
	s_barrier_signal -1
	s_barrier_wait -1
	global_inv scope:SCOPE_SE
	v_add_f64_e32 v[2:3], v[2:3], v[194:195]
	v_fma_f64 v[88:89], v[20:21], v[36:37], -v[0:1]
	v_mul_f64_e32 v[0:1], v[20:21], v[38:39]
	s_delay_alu instid0(VALU_DEP_3) | instskip(NEXT) | instid1(VALU_DEP_2)
	v_add_f64_e32 v[2:3], v[2:3], v[56:57]
	v_fma_f64 v[84:85], v[22:23], v[36:37], v[0:1]
	v_mul_f64_e32 v[0:1], v[18:19], v[34:35]
	s_delay_alu instid0(VALU_DEP_1) | instskip(SKIP_1) | instid1(VALU_DEP_1)
	v_fma_f64 v[96:97], v[16:17], v[32:33], -v[0:1]
	v_mul_f64_e32 v[0:1], v[16:17], v[34:35]
	v_fma_f64 v[92:93], v[18:19], v[32:33], v[0:1]
	v_mul_f64_e32 v[0:1], v[14:15], v[30:31]
	s_delay_alu instid0(VALU_DEP_1) | instskip(SKIP_2) | instid1(VALU_DEP_2)
	v_fma_f64 v[102:103], v[12:13], v[28:29], -v[0:1]
	v_mul_f64_e32 v[0:1], v[12:13], v[30:31]
	v_add_f64_e64 v[12:13], v[205:206], -v[58:59]
	v_fma_f64 v[98:99], v[14:15], v[28:29], v[0:1]
	v_mul_f64_e32 v[0:1], v[6:7], v[26:27]
	v_add_f64_e64 v[14:15], v[198:199], -v[52:53]
	s_delay_alu instid0(VALU_DEP_4)
	v_mul_f64_e32 v[20:21], s[48:49], v[12:13]
	v_mul_f64_e32 v[28:29], s[34:35], v[12:13]
	;; [unrolled: 1-line block ×4, first 2 shown]
	v_fma_f64 v[190:191], v[4:5], v[24:25], -v[0:1]
	v_mul_f64_e32 v[0:1], v[4:5], v[26:27]
	v_mul_f64_e32 v[16:17], s[48:49], v[14:15]
	;; [unrolled: 1-line block ×5, first 2 shown]
	v_fma_f64 v[154:155], v[6:7], v[24:25], v[0:1]
	v_add_f64_e32 v[0:1], v[8:9], v[205:206]
	v_add_f64_e32 v[6:7], v[2:3], v[52:53]
	;; [unrolled: 1-line block ×3, first 2 shown]
	v_mul_f64_e32 v[24:25], s[34:35], v[14:15]
	v_mul_f64_e32 v[52:53], s[26:27], v[12:13]
	v_mul_f64_e32 v[14:15], s[30:31], v[14:15]
	v_mul_f64_e32 v[12:13], s[30:31], v[12:13]
	v_add_f64_e32 v[0:1], v[0:1], v[182:183]
	v_fma_f64 v[22:23], v[2:3], s[22:23], v[20:21]
	v_fma_f64 v[20:21], v[2:3], s[22:23], -v[20:21]
	v_fma_f64 v[30:31], v[2:3], s[18:19], v[28:29]
	v_fma_f64 v[28:29], v[2:3], s[18:19], -v[28:29]
	v_fma_f64 v[38:39], v[2:3], s[2:3], v[36:37]
	v_fma_f64 v[36:37], v[2:3], s[2:3], -v[36:37]
	v_fma_f64 v[46:47], v[2:3], s[14:15], v[44:45]
	v_fma_f64 v[44:45], v[2:3], s[14:15], -v[44:45]
	v_fma_f64 v[54:55], v[2:3], s[24:25], v[52:53]
	v_fma_f64 v[52:53], v[2:3], s[24:25], -v[52:53]
	v_fma_f64 v[198:199], v[2:3], s[28:29], v[12:13]
	v_fma_f64 v[2:3], v[2:3], s[28:29], -v[12:13]
	v_add_f64_e64 v[12:13], v[182:183], -v[196:197]
	v_add_f64_e32 v[0:1], v[0:1], v[172:173]
	v_add_f64_e32 v[22:23], v[10:11], v[22:23]
	;; [unrolled: 1-line block ×15, first 2 shown]
	s_delay_alu instid0(VALU_DEP_1) | instskip(NEXT) | instid1(VALU_DEP_1)
	v_add_f64_e32 v[0:1], v[0:1], v[168:169]
	v_add_f64_e32 v[0:1], v[0:1], v[156:157]
	s_delay_alu instid0(VALU_DEP_1) | instskip(NEXT) | instid1(VALU_DEP_1)
	v_add_f64_e32 v[0:1], v[0:1], v[164:165]
	v_add_f64_e32 v[0:1], v[0:1], v[178:179]
	;; [unrolled: 3-line block ×4, first 2 shown]
	v_add_f64_e32 v[0:1], v[205:206], v[58:59]
	s_delay_alu instid0(VALU_DEP_1)
	v_fma_f64 v[18:19], v[0:1], s[22:23], -v[16:17]
	v_fma_f64 v[16:17], v[0:1], s[22:23], v[16:17]
	v_fma_f64 v[26:27], v[0:1], s[18:19], -v[24:25]
	v_fma_f64 v[24:25], v[0:1], s[18:19], v[24:25]
	;; [unrolled: 2-line block ×6, first 2 shown]
	v_add_f64_e64 v[14:15], v[184:185], -v[56:57]
	v_add_f64_e32 v[18:19], v[8:9], v[18:19]
	v_add_f64_e32 v[16:17], v[8:9], v[16:17]
	;; [unrolled: 1-line block ×13, first 2 shown]
	v_mul_f64_e32 v[56:57], s[34:35], v[14:15]
	s_delay_alu instid0(VALU_DEP_1) | instskip(SKIP_1) | instid1(VALU_DEP_2)
	v_fma_f64 v[182:183], v[8:9], s[18:19], -v[56:57]
	v_fma_f64 v[56:57], v[8:9], s[18:19], v[56:57]
	v_add_f64_e32 v[18:19], v[182:183], v[18:19]
	v_mul_f64_e32 v[182:183], s[34:35], v[12:13]
	s_delay_alu instid0(VALU_DEP_3) | instskip(NEXT) | instid1(VALU_DEP_2)
	v_add_f64_e32 v[16:17], v[56:57], v[16:17]
	v_fma_f64 v[56:57], v[10:11], s[18:19], -v[182:183]
	v_fma_f64 v[184:185], v[10:11], s[18:19], v[182:183]
	s_delay_alu instid0(VALU_DEP_2) | instskip(SKIP_1) | instid1(VALU_DEP_3)
	v_add_f64_e32 v[20:21], v[56:57], v[20:21]
	v_mul_f64_e32 v[56:57], s[16:17], v[14:15]
	v_add_f64_e32 v[22:23], v[184:185], v[22:23]
	s_delay_alu instid0(VALU_DEP_2) | instskip(SKIP_1) | instid1(VALU_DEP_2)
	v_fma_f64 v[182:183], v[8:9], s[14:15], -v[56:57]
	v_fma_f64 v[56:57], v[8:9], s[14:15], v[56:57]
	v_add_f64_e32 v[26:27], v[182:183], v[26:27]
	v_mul_f64_e32 v[182:183], s[16:17], v[12:13]
	s_delay_alu instid0(VALU_DEP_3) | instskip(NEXT) | instid1(VALU_DEP_2)
	v_add_f64_e32 v[24:25], v[56:57], v[24:25]
	v_fma_f64 v[56:57], v[10:11], s[14:15], -v[182:183]
	v_fma_f64 v[184:185], v[10:11], s[14:15], v[182:183]
	s_delay_alu instid0(VALU_DEP_2) | instskip(SKIP_1) | instid1(VALU_DEP_3)
	v_add_f64_e32 v[28:29], v[56:57], v[28:29]
	v_mul_f64_e32 v[56:57], s[30:31], v[14:15]
	v_add_f64_e32 v[30:31], v[184:185], v[30:31]
	s_delay_alu instid0(VALU_DEP_2) | instskip(SKIP_1) | instid1(VALU_DEP_2)
	;; [unrolled: 13-line block ×3, first 2 shown]
	v_fma_f64 v[182:183], v[8:9], s[24:25], -v[56:57]
	v_fma_f64 v[56:57], v[8:9], s[24:25], v[56:57]
	v_add_f64_e32 v[42:43], v[182:183], v[42:43]
	v_mul_f64_e32 v[182:183], s[44:45], v[12:13]
	s_delay_alu instid0(VALU_DEP_3) | instskip(NEXT) | instid1(VALU_DEP_2)
	v_add_f64_e32 v[40:41], v[56:57], v[40:41]
	v_fma_f64 v[56:57], v[10:11], s[24:25], -v[182:183]
	v_fma_f64 v[184:185], v[10:11], s[24:25], v[182:183]
	s_delay_alu instid0(VALU_DEP_2) | instskip(SKIP_2) | instid1(VALU_DEP_4)
	v_add_f64_e32 v[44:45], v[56:57], v[44:45]
	v_mul_f64_e32 v[56:57], s[20:21], v[14:15]
	v_mul_f64_e32 v[14:15], s[38:39], v[14:15]
	v_add_f64_e32 v[46:47], v[184:185], v[46:47]
	s_delay_alu instid0(VALU_DEP_3) | instskip(SKIP_1) | instid1(VALU_DEP_2)
	v_fma_f64 v[182:183], v[8:9], s[2:3], -v[56:57]
	v_fma_f64 v[56:57], v[8:9], s[2:3], v[56:57]
	v_add_f64_e32 v[50:51], v[182:183], v[50:51]
	v_mul_f64_e32 v[182:183], s[20:21], v[12:13]
	s_delay_alu instid0(VALU_DEP_3) | instskip(SKIP_1) | instid1(VALU_DEP_3)
	v_add_f64_e32 v[48:49], v[56:57], v[48:49]
	v_mul_f64_e32 v[12:13], s[38:39], v[12:13]
	v_fma_f64 v[56:57], v[10:11], s[2:3], -v[182:183]
	v_fma_f64 v[184:185], v[10:11], s[2:3], v[182:183]
	s_delay_alu instid0(VALU_DEP_2) | instskip(SKIP_4) | instid1(VALU_DEP_4)
	v_add_f64_e32 v[52:53], v[56:57], v[52:53]
	v_fma_f64 v[56:57], v[8:9], s[22:23], -v[14:15]
	v_fma_f64 v[8:9], v[8:9], s[22:23], v[14:15]
	v_add_f64_e64 v[14:15], v[174:175], -v[194:195]
	v_add_f64_e32 v[54:55], v[184:185], v[54:55]
	v_add_f64_e32 v[56:57], v[56:57], v[58:59]
	s_delay_alu instid0(VALU_DEP_4) | instskip(SKIP_4) | instid1(VALU_DEP_4)
	v_add_f64_e32 v[0:1], v[8:9], v[0:1]
	v_fma_f64 v[8:9], v[10:11], s[22:23], -v[12:13]
	v_fma_f64 v[58:59], v[10:11], s[22:23], v[12:13]
	v_add_f64_e64 v[12:13], v[172:173], -v[192:193]
	v_add_f64_e32 v[10:11], v[174:175], v[194:195]
	v_add_f64_e32 v[2:3], v[8:9], v[2:3]
	;; [unrolled: 1-line block ×3, first 2 shown]
	v_mul_f64_e32 v[172:173], s[40:41], v[14:15]
	v_add_f64_e32 v[58:59], v[58:59], v[198:199]
	s_delay_alu instid0(VALU_DEP_2) | instskip(SKIP_1) | instid1(VALU_DEP_2)
	v_fma_f64 v[174:175], v[8:9], s[2:3], -v[172:173]
	v_fma_f64 v[172:173], v[8:9], s[2:3], v[172:173]
	v_add_f64_e32 v[18:19], v[174:175], v[18:19]
	v_mul_f64_e32 v[174:175], s[40:41], v[12:13]
	s_delay_alu instid0(VALU_DEP_3) | instskip(NEXT) | instid1(VALU_DEP_2)
	v_add_f64_e32 v[16:17], v[172:173], v[16:17]
	v_fma_f64 v[172:173], v[10:11], s[2:3], -v[174:175]
	v_fma_f64 v[182:183], v[10:11], s[2:3], v[174:175]
	s_delay_alu instid0(VALU_DEP_2) | instskip(SKIP_1) | instid1(VALU_DEP_3)
	v_add_f64_e32 v[20:21], v[172:173], v[20:21]
	v_mul_f64_e32 v[172:173], s[30:31], v[14:15]
	v_add_f64_e32 v[22:23], v[182:183], v[22:23]
	s_delay_alu instid0(VALU_DEP_2) | instskip(SKIP_1) | instid1(VALU_DEP_2)
	v_fma_f64 v[174:175], v[8:9], s[28:29], -v[172:173]
	v_fma_f64 v[172:173], v[8:9], s[28:29], v[172:173]
	v_add_f64_e32 v[26:27], v[174:175], v[26:27]
	v_mul_f64_e32 v[174:175], s[30:31], v[12:13]
	s_delay_alu instid0(VALU_DEP_3) | instskip(NEXT) | instid1(VALU_DEP_2)
	v_add_f64_e32 v[24:25], v[172:173], v[24:25]
	v_fma_f64 v[172:173], v[10:11], s[28:29], -v[174:175]
	v_fma_f64 v[182:183], v[10:11], s[28:29], v[174:175]
	s_delay_alu instid0(VALU_DEP_2) | instskip(SKIP_1) | instid1(VALU_DEP_3)
	v_add_f64_e32 v[28:29], v[172:173], v[28:29]
	v_mul_f64_e32 v[172:173], s[46:47], v[14:15]
	v_add_f64_e32 v[30:31], v[182:183], v[30:31]
	s_delay_alu instid0(VALU_DEP_2) | instskip(SKIP_1) | instid1(VALU_DEP_2)
	v_fma_f64 v[174:175], v[8:9], s[14:15], -v[172:173]
	v_fma_f64 v[172:173], v[8:9], s[14:15], v[172:173]
	v_add_f64_e32 v[34:35], v[174:175], v[34:35]
	v_mul_f64_e32 v[174:175], s[46:47], v[12:13]
	s_delay_alu instid0(VALU_DEP_3) | instskip(NEXT) | instid1(VALU_DEP_2)
	v_add_f64_e32 v[32:33], v[172:173], v[32:33]
	v_fma_f64 v[172:173], v[10:11], s[14:15], -v[174:175]
	v_fma_f64 v[182:183], v[10:11], s[14:15], v[174:175]
	s_delay_alu instid0(VALU_DEP_2) | instskip(SKIP_1) | instid1(VALU_DEP_3)
	v_add_f64_e32 v[36:37], v[172:173], v[36:37]
	v_mul_f64_e32 v[172:173], s[38:39], v[14:15]
	v_add_f64_e32 v[38:39], v[182:183], v[38:39]
	s_delay_alu instid0(VALU_DEP_2) | instskip(SKIP_1) | instid1(VALU_DEP_2)
	v_fma_f64 v[174:175], v[8:9], s[22:23], -v[172:173]
	v_fma_f64 v[172:173], v[8:9], s[22:23], v[172:173]
	v_add_f64_e32 v[42:43], v[174:175], v[42:43]
	v_mul_f64_e32 v[174:175], s[38:39], v[12:13]
	s_delay_alu instid0(VALU_DEP_3) | instskip(NEXT) | instid1(VALU_DEP_2)
	v_add_f64_e32 v[40:41], v[172:173], v[40:41]
	v_fma_f64 v[172:173], v[10:11], s[22:23], -v[174:175]
	v_fma_f64 v[182:183], v[10:11], s[22:23], v[174:175]
	s_delay_alu instid0(VALU_DEP_2) | instskip(SKIP_2) | instid1(VALU_DEP_4)
	v_add_f64_e32 v[44:45], v[172:173], v[44:45]
	v_mul_f64_e32 v[172:173], s[34:35], v[14:15]
	v_mul_f64_e32 v[14:15], s[26:27], v[14:15]
	v_add_f64_e32 v[46:47], v[182:183], v[46:47]
	s_delay_alu instid0(VALU_DEP_3) | instskip(SKIP_1) | instid1(VALU_DEP_2)
	v_fma_f64 v[174:175], v[8:9], s[18:19], -v[172:173]
	v_fma_f64 v[172:173], v[8:9], s[18:19], v[172:173]
	v_add_f64_e32 v[50:51], v[174:175], v[50:51]
	v_mul_f64_e32 v[174:175], s[34:35], v[12:13]
	s_delay_alu instid0(VALU_DEP_3) | instskip(SKIP_1) | instid1(VALU_DEP_3)
	v_add_f64_e32 v[48:49], v[172:173], v[48:49]
	v_mul_f64_e32 v[12:13], s[26:27], v[12:13]
	v_fma_f64 v[172:173], v[10:11], s[18:19], -v[174:175]
	v_fma_f64 v[182:183], v[10:11], s[18:19], v[174:175]
	s_delay_alu instid0(VALU_DEP_2) | instskip(SKIP_4) | instid1(VALU_DEP_4)
	v_add_f64_e32 v[52:53], v[172:173], v[52:53]
	v_fma_f64 v[172:173], v[8:9], s[24:25], -v[14:15]
	v_fma_f64 v[8:9], v[8:9], s[24:25], v[14:15]
	v_add_f64_e64 v[14:15], v[160:161], -v[188:189]
	v_add_f64_e32 v[54:55], v[182:183], v[54:55]
	v_add_f64_e32 v[56:57], v[172:173], v[56:57]
	s_delay_alu instid0(VALU_DEP_4) | instskip(SKIP_4) | instid1(VALU_DEP_4)
	v_add_f64_e32 v[0:1], v[8:9], v[0:1]
	v_fma_f64 v[8:9], v[10:11], s[24:25], -v[12:13]
	v_fma_f64 v[172:173], v[10:11], s[24:25], v[12:13]
	v_add_f64_e64 v[12:13], v[158:159], -v[186:187]
	v_add_f64_e32 v[10:11], v[160:161], v[188:189]
	v_add_f64_e32 v[2:3], v[8:9], v[2:3]
	v_add_f64_e32 v[8:9], v[158:159], v[186:187]
	v_mul_f64_e32 v[158:159], s[16:17], v[14:15]
	v_add_f64_e32 v[58:59], v[172:173], v[58:59]
	s_delay_alu instid0(VALU_DEP_2) | instskip(SKIP_1) | instid1(VALU_DEP_2)
	v_fma_f64 v[160:161], v[8:9], s[14:15], -v[158:159]
	v_fma_f64 v[158:159], v[8:9], s[14:15], v[158:159]
	v_add_f64_e32 v[18:19], v[160:161], v[18:19]
	v_mul_f64_e32 v[160:161], s[16:17], v[12:13]
	s_delay_alu instid0(VALU_DEP_3) | instskip(NEXT) | instid1(VALU_DEP_2)
	v_add_f64_e32 v[16:17], v[158:159], v[16:17]
	v_fma_f64 v[158:159], v[10:11], s[14:15], -v[160:161]
	v_fma_f64 v[172:173], v[10:11], s[14:15], v[160:161]
	s_delay_alu instid0(VALU_DEP_2) | instskip(SKIP_1) | instid1(VALU_DEP_3)
	v_add_f64_e32 v[20:21], v[158:159], v[20:21]
	v_mul_f64_e32 v[158:159], s[44:45], v[14:15]
	v_add_f64_e32 v[22:23], v[172:173], v[22:23]
	s_delay_alu instid0(VALU_DEP_2) | instskip(SKIP_1) | instid1(VALU_DEP_2)
	v_fma_f64 v[160:161], v[8:9], s[24:25], -v[158:159]
	v_fma_f64 v[158:159], v[8:9], s[24:25], v[158:159]
	v_add_f64_e32 v[26:27], v[160:161], v[26:27]
	v_mul_f64_e32 v[160:161], s[44:45], v[12:13]
	s_delay_alu instid0(VALU_DEP_3) | instskip(NEXT) | instid1(VALU_DEP_2)
	v_add_f64_e32 v[24:25], v[158:159], v[24:25]
	v_fma_f64 v[158:159], v[10:11], s[24:25], -v[160:161]
	v_fma_f64 v[172:173], v[10:11], s[24:25], v[160:161]
	s_delay_alu instid0(VALU_DEP_2) | instskip(SKIP_1) | instid1(VALU_DEP_3)
	v_add_f64_e32 v[28:29], v[158:159], v[28:29]
	;; [unrolled: 13-line block ×3, first 2 shown]
	v_mul_f64_e32 v[158:159], s[40:41], v[14:15]
	v_add_f64_e32 v[38:39], v[172:173], v[38:39]
	s_delay_alu instid0(VALU_DEP_2) | instskip(SKIP_1) | instid1(VALU_DEP_2)
	v_fma_f64 v[160:161], v[8:9], s[2:3], -v[158:159]
	v_fma_f64 v[158:159], v[8:9], s[2:3], v[158:159]
	v_add_f64_e32 v[42:43], v[160:161], v[42:43]
	v_mul_f64_e32 v[160:161], s[40:41], v[12:13]
	s_delay_alu instid0(VALU_DEP_3) | instskip(NEXT) | instid1(VALU_DEP_2)
	v_add_f64_e32 v[40:41], v[158:159], v[40:41]
	v_fma_f64 v[158:159], v[10:11], s[2:3], -v[160:161]
	v_fma_f64 v[172:173], v[10:11], s[2:3], v[160:161]
	s_delay_alu instid0(VALU_DEP_2) | instskip(SKIP_2) | instid1(VALU_DEP_4)
	v_add_f64_e32 v[44:45], v[158:159], v[44:45]
	v_mul_f64_e32 v[158:159], s[42:43], v[14:15]
	v_mul_f64_e32 v[14:15], s[36:37], v[14:15]
	v_add_f64_e32 v[46:47], v[172:173], v[46:47]
	s_delay_alu instid0(VALU_DEP_3) | instskip(SKIP_1) | instid1(VALU_DEP_2)
	v_fma_f64 v[160:161], v[8:9], s[28:29], -v[158:159]
	v_fma_f64 v[158:159], v[8:9], s[28:29], v[158:159]
	v_add_f64_e32 v[50:51], v[160:161], v[50:51]
	v_mul_f64_e32 v[160:161], s[42:43], v[12:13]
	s_delay_alu instid0(VALU_DEP_3) | instskip(SKIP_1) | instid1(VALU_DEP_3)
	v_add_f64_e32 v[48:49], v[158:159], v[48:49]
	v_mul_f64_e32 v[12:13], s[36:37], v[12:13]
	v_fma_f64 v[158:159], v[10:11], s[28:29], -v[160:161]
	v_fma_f64 v[172:173], v[10:11], s[28:29], v[160:161]
	s_delay_alu instid0(VALU_DEP_2) | instskip(SKIP_4) | instid1(VALU_DEP_4)
	v_add_f64_e32 v[52:53], v[158:159], v[52:53]
	v_fma_f64 v[158:159], v[8:9], s[18:19], -v[14:15]
	v_fma_f64 v[8:9], v[8:9], s[18:19], v[14:15]
	v_add_f64_e64 v[14:15], v[170:171], -v[180:181]
	v_add_f64_e32 v[54:55], v[172:173], v[54:55]
	v_add_f64_e32 v[56:57], v[158:159], v[56:57]
	v_fma_f64 v[158:159], v[10:11], s[18:19], v[12:13]
	v_add_f64_e32 v[0:1], v[8:9], v[0:1]
	v_fma_f64 v[8:9], v[10:11], s[18:19], -v[12:13]
	v_add_f64_e64 v[12:13], v[168:169], -v[178:179]
	v_add_f64_e32 v[10:11], v[170:171], v[180:181]
	v_add_f64_e32 v[180:181], v[162:163], v[166:167]
	v_add_f64_e64 v[162:163], v[162:163], -v[166:167]
	v_add_f64_e32 v[58:59], v[158:159], v[58:59]
	v_mul_f64_e32 v[158:159], s[26:27], v[14:15]
	v_add_f64_e32 v[2:3], v[8:9], v[2:3]
	v_add_f64_e32 v[8:9], v[168:169], v[178:179]
	v_add_f64_e32 v[178:179], v[156:157], v[164:165]
	v_add_f64_e64 v[156:157], v[156:157], -v[164:165]
	v_add_f64_e64 v[164:165], v[176:177], -v[190:191]
	s_delay_alu instid0(VALU_DEP_4) | instskip(SKIP_1) | instid1(VALU_DEP_3)
	v_fma_f64 v[160:161], v[8:9], s[24:25], -v[158:159]
	v_fma_f64 v[158:159], v[8:9], s[24:25], v[158:159]
	v_mul_f64_e32 v[188:189], s[16:17], v[164:165]
	v_mul_f64_e32 v[196:197], s[26:27], v[164:165]
	s_delay_alu instid0(VALU_DEP_4) | instskip(SKIP_2) | instid1(VALU_DEP_2)
	v_add_f64_e32 v[18:19], v[160:161], v[18:19]
	v_mul_f64_e32 v[160:161], s[26:27], v[12:13]
	v_add_f64_e32 v[16:17], v[158:159], v[16:17]
	v_fma_f64 v[158:159], v[10:11], s[24:25], -v[160:161]
	v_fma_f64 v[168:169], v[10:11], s[24:25], v[160:161]
	s_delay_alu instid0(VALU_DEP_2) | instskip(SKIP_1) | instid1(VALU_DEP_3)
	v_add_f64_e32 v[20:21], v[158:159], v[20:21]
	v_mul_f64_e32 v[158:159], s[20:21], v[14:15]
	v_add_f64_e32 v[22:23], v[168:169], v[22:23]
	s_delay_alu instid0(VALU_DEP_2) | instskip(SKIP_1) | instid1(VALU_DEP_2)
	v_fma_f64 v[160:161], v[8:9], s[2:3], -v[158:159]
	v_fma_f64 v[158:159], v[8:9], s[2:3], v[158:159]
	v_add_f64_e32 v[160:161], v[160:161], v[26:27]
	v_mul_f64_e32 v[26:27], s[20:21], v[12:13]
	s_delay_alu instid0(VALU_DEP_3) | instskip(NEXT) | instid1(VALU_DEP_2)
	v_add_f64_e32 v[158:159], v[158:159], v[24:25]
	v_fma_f64 v[168:169], v[10:11], s[2:3], v[26:27]
	v_fma_f64 v[24:25], v[10:11], s[2:3], -v[26:27]
	s_delay_alu instid0(VALU_DEP_2) | instskip(NEXT) | instid1(VALU_DEP_2)
	v_add_f64_e32 v[30:31], v[168:169], v[30:31]
	v_add_f64_e32 v[168:169], v[24:25], v[28:29]
	v_mul_f64_e32 v[24:25], s[34:35], v[14:15]
	s_delay_alu instid0(VALU_DEP_1) | instskip(SKIP_1) | instid1(VALU_DEP_2)
	v_fma_f64 v[26:27], v[8:9], s[18:19], -v[24:25]
	v_fma_f64 v[24:25], v[8:9], s[18:19], v[24:25]
	v_add_f64_e32 v[34:35], v[26:27], v[34:35]
	v_mul_f64_e32 v[26:27], s[34:35], v[12:13]
	s_delay_alu instid0(VALU_DEP_3) | instskip(NEXT) | instid1(VALU_DEP_2)
	v_add_f64_e32 v[32:33], v[24:25], v[32:33]
	v_fma_f64 v[24:25], v[10:11], s[18:19], -v[26:27]
	v_fma_f64 v[28:29], v[10:11], s[18:19], v[26:27]
	s_delay_alu instid0(VALU_DEP_2) | instskip(SKIP_1) | instid1(VALU_DEP_3)
	v_add_f64_e32 v[170:171], v[24:25], v[36:37]
	v_mul_f64_e32 v[24:25], s[42:43], v[14:15]
	v_add_f64_e32 v[38:39], v[28:29], v[38:39]
	s_delay_alu instid0(VALU_DEP_2) | instskip(SKIP_1) | instid1(VALU_DEP_2)
	v_fma_f64 v[26:27], v[8:9], s[28:29], -v[24:25]
	v_fma_f64 v[24:25], v[8:9], s[28:29], v[24:25]
	v_add_f64_e32 v[42:43], v[26:27], v[42:43]
	v_mul_f64_e32 v[26:27], s[42:43], v[12:13]
	s_delay_alu instid0(VALU_DEP_3) | instskip(NEXT) | instid1(VALU_DEP_2)
	v_add_f64_e32 v[172:173], v[24:25], v[40:41]
	v_fma_f64 v[24:25], v[10:11], s[28:29], -v[26:27]
	v_fma_f64 v[28:29], v[10:11], s[28:29], v[26:27]
	s_delay_alu instid0(VALU_DEP_2) | instskip(SKIP_2) | instid1(VALU_DEP_4)
	v_add_f64_e32 v[44:45], v[24:25], v[44:45]
	v_mul_f64_e32 v[24:25], s[38:39], v[14:15]
	v_mul_f64_e32 v[14:15], s[16:17], v[14:15]
	v_add_f64_e32 v[46:47], v[28:29], v[46:47]
	s_delay_alu instid0(VALU_DEP_3) | instskip(SKIP_1) | instid1(VALU_DEP_2)
	v_fma_f64 v[26:27], v[8:9], s[22:23], -v[24:25]
	v_fma_f64 v[24:25], v[8:9], s[22:23], v[24:25]
	v_add_f64_e32 v[50:51], v[26:27], v[50:51]
	v_mul_f64_e32 v[26:27], s[38:39], v[12:13]
	s_delay_alu instid0(VALU_DEP_3) | instskip(SKIP_1) | instid1(VALU_DEP_3)
	v_add_f64_e32 v[174:175], v[24:25], v[48:49]
	v_mul_f64_e32 v[12:13], s[16:17], v[12:13]
	v_fma_f64 v[24:25], v[10:11], s[22:23], -v[26:27]
	v_fma_f64 v[28:29], v[10:11], s[22:23], v[26:27]
	s_delay_alu instid0(VALU_DEP_2) | instskip(SKIP_2) | instid1(VALU_DEP_4)
	v_add_f64_e32 v[52:53], v[24:25], v[52:53]
	v_fma_f64 v[24:25], v[8:9], s[14:15], -v[14:15]
	v_fma_f64 v[8:9], v[8:9], s[14:15], v[14:15]
	v_add_f64_e32 v[54:55], v[28:29], v[54:55]
	s_delay_alu instid0(VALU_DEP_3) | instskip(NEXT) | instid1(VALU_DEP_3)
	v_add_f64_e32 v[56:57], v[24:25], v[56:57]
	v_add_f64_e32 v[0:1], v[8:9], v[0:1]
	v_fma_f64 v[8:9], v[10:11], s[14:15], -v[12:13]
	v_fma_f64 v[24:25], v[10:11], s[14:15], v[12:13]
	s_delay_alu instid0(VALU_DEP_2) | instskip(SKIP_1) | instid1(VALU_DEP_3)
	v_add_f64_e32 v[2:3], v[8:9], v[2:3]
	v_mul_f64_e32 v[8:9], s[30:31], v[162:163]
	v_add_f64_e32 v[58:59], v[24:25], v[58:59]
	s_delay_alu instid0(VALU_DEP_2) | instskip(SKIP_1) | instid1(VALU_DEP_2)
	v_fma_f64 v[10:11], v[178:179], s[28:29], -v[8:9]
	v_fma_f64 v[8:9], v[178:179], s[28:29], v[8:9]
	v_add_f64_e32 v[24:25], v[10:11], v[18:19]
	v_mul_f64_e32 v[10:11], s[30:31], v[156:157]
	s_delay_alu instid0(VALU_DEP_3) | instskip(NEXT) | instid1(VALU_DEP_2)
	v_add_f64_e32 v[8:9], v[8:9], v[16:17]
	v_fma_f64 v[12:13], v[180:181], s[28:29], v[10:11]
	v_fma_f64 v[10:11], v[180:181], s[28:29], -v[10:11]
	s_delay_alu instid0(VALU_DEP_2) | instskip(SKIP_1) | instid1(VALU_DEP_3)
	v_add_f64_e32 v[26:27], v[12:13], v[22:23]
	v_mul_f64_e32 v[12:13], s[38:39], v[162:163]
	v_add_f64_e32 v[10:11], v[10:11], v[20:21]
	s_delay_alu instid0(VALU_DEP_2) | instskip(SKIP_1) | instid1(VALU_DEP_2)
	v_fma_f64 v[14:15], v[178:179], s[22:23], -v[12:13]
	v_fma_f64 v[12:13], v[178:179], s[22:23], v[12:13]
	v_add_f64_e32 v[28:29], v[14:15], v[160:161]
	v_mul_f64_e32 v[14:15], s[38:39], v[156:157]
	v_add_f64_e32 v[160:161], v[176:177], v[190:191]
	s_delay_alu instid0(VALU_DEP_4) | instskip(SKIP_1) | instid1(VALU_DEP_4)
	v_add_f64_e32 v[12:13], v[12:13], v[158:159]
	v_mul_f64_e32 v[158:159], s[48:49], v[164:165]
	v_fma_f64 v[16:17], v[180:181], s[22:23], v[14:15]
	v_fma_f64 v[14:15], v[180:181], s[22:23], -v[14:15]
	s_delay_alu instid0(VALU_DEP_2) | instskip(SKIP_1) | instid1(VALU_DEP_3)
	v_add_f64_e32 v[30:31], v[16:17], v[30:31]
	v_mul_f64_e32 v[16:17], s[26:27], v[162:163]
	v_add_f64_e32 v[14:15], v[14:15], v[168:169]
	s_delay_alu instid0(VALU_DEP_2) | instskip(SKIP_1) | instid1(VALU_DEP_2)
	v_fma_f64 v[18:19], v[178:179], s[24:25], -v[16:17]
	v_fma_f64 v[16:17], v[178:179], s[24:25], v[16:17]
	v_add_f64_e32 v[36:37], v[18:19], v[34:35]
	v_mul_f64_e32 v[18:19], s[26:27], v[156:157]
	s_delay_alu instid0(VALU_DEP_3) | instskip(NEXT) | instid1(VALU_DEP_2)
	v_add_f64_e32 v[16:17], v[16:17], v[32:33]
	v_fma_f64 v[20:21], v[180:181], s[24:25], v[18:19]
	v_fma_f64 v[18:19], v[180:181], s[24:25], -v[18:19]
	s_delay_alu instid0(VALU_DEP_2) | instskip(SKIP_1) | instid1(VALU_DEP_3)
	v_add_f64_e32 v[38:39], v[20:21], v[38:39]
	v_mul_f64_e32 v[20:21], s[36:37], v[162:163]
	v_add_f64_e32 v[18:19], v[18:19], v[170:171]
	s_delay_alu instid0(VALU_DEP_2) | instskip(SKIP_1) | instid1(VALU_DEP_2)
	v_fma_f64 v[22:23], v[178:179], s[18:19], -v[20:21]
	v_fma_f64 v[20:21], v[178:179], s[18:19], v[20:21]
	v_add_f64_e32 v[40:41], v[22:23], v[42:43]
	v_mul_f64_e32 v[22:23], s[36:37], v[156:157]
	s_delay_alu instid0(VALU_DEP_3) | instskip(SKIP_1) | instid1(VALU_DEP_3)
	v_add_f64_e32 v[20:21], v[20:21], v[172:173]
	v_mul_f64_e32 v[172:173], s[34:35], v[164:165]
	v_fma_f64 v[32:33], v[180:181], s[18:19], v[22:23]
	v_fma_f64 v[22:23], v[180:181], s[18:19], -v[22:23]
	s_delay_alu instid0(VALU_DEP_2) | instskip(SKIP_1) | instid1(VALU_DEP_3)
	v_add_f64_e32 v[42:43], v[32:33], v[46:47]
	v_mul_f64_e32 v[32:33], s[16:17], v[162:163]
	v_add_f64_e32 v[22:23], v[22:23], v[44:45]
	s_delay_alu instid0(VALU_DEP_2) | instskip(SKIP_1) | instid1(VALU_DEP_2)
	v_fma_f64 v[34:35], v[178:179], s[14:15], -v[32:33]
	v_fma_f64 v[32:33], v[178:179], s[14:15], v[32:33]
	v_add_f64_e32 v[48:49], v[34:35], v[50:51]
	v_mul_f64_e32 v[34:35], s[16:17], v[156:157]
	s_delay_alu instid0(VALU_DEP_3) | instskip(NEXT) | instid1(VALU_DEP_2)
	v_add_f64_e32 v[32:33], v[32:33], v[174:175]
	v_fma_f64 v[44:45], v[180:181], s[14:15], v[34:35]
	v_fma_f64 v[34:35], v[180:181], s[14:15], -v[34:35]
	s_delay_alu instid0(VALU_DEP_2) | instskip(SKIP_1) | instid1(VALU_DEP_3)
	v_add_f64_e32 v[50:51], v[44:45], v[54:55]
	v_mul_f64_e32 v[44:45], s[20:21], v[162:163]
	v_add_f64_e32 v[34:35], v[34:35], v[52:53]
	s_delay_alu instid0(VALU_DEP_2) | instskip(SKIP_1) | instid1(VALU_DEP_2)
	v_fma_f64 v[46:47], v[178:179], s[2:3], -v[44:45]
	v_fma_f64 v[44:45], v[178:179], s[2:3], v[44:45]
	v_add_f64_e32 v[56:57], v[46:47], v[56:57]
	v_mul_f64_e32 v[46:47], s[20:21], v[156:157]
	v_add_f64_e32 v[156:157], v[152:153], v[154:155]
	s_delay_alu instid0(VALU_DEP_2) | instskip(NEXT) | instid1(VALU_DEP_2)
	v_fma_f64 v[52:53], v[180:181], s[2:3], v[46:47]
	v_fma_f64 v[168:169], v[156:157], s[18:19], v[172:173]
	;; [unrolled: 1-line block ×4, first 2 shown]
	s_delay_alu instid0(VALU_DEP_4)
	v_add_f64_e32 v[58:59], v[52:53], v[58:59]
	v_add_f64_e32 v[52:53], v[44:45], v[0:1]
	v_fma_f64 v[0:1], v[180:181], s[2:3], -v[46:47]
	v_mul_f64_e32 v[180:181], s[40:41], v[164:165]
	v_add_f64_e32 v[168:169], v[62:63], v[168:169]
	v_add_f64_e32 v[184:185], v[62:63], v[184:185]
	;; [unrolled: 1-line block ×6, first 2 shown]
	v_fma_f64 v[176:177], v[156:157], s[2:3], v[180:181]
	s_delay_alu instid0(VALU_DEP_3) | instskip(NEXT) | instid1(VALU_DEP_3)
	v_add_f64_e32 v[0:1], v[0:1], v[100:101]
	v_add_f64_e32 v[2:3], v[2:3], v[94:95]
	s_delay_alu instid0(VALU_DEP_3) | instskip(NEXT) | instid1(VALU_DEP_3)
	v_add_f64_e32 v[176:177], v[62:63], v[176:177]
	v_add_f64_e32 v[0:1], v[0:1], v[90:91]
	s_delay_alu instid0(VALU_DEP_3) | instskip(NEXT) | instid1(VALU_DEP_2)
	v_add_f64_e32 v[2:3], v[2:3], v[86:87]
	v_add_f64_e32 v[0:1], v[0:1], v[82:83]
	s_delay_alu instid0(VALU_DEP_2) | instskip(NEXT) | instid1(VALU_DEP_2)
	v_add_f64_e32 v[2:3], v[2:3], v[80:81]
	v_add_f64_e32 v[0:1], v[0:1], v[76:77]
	s_delay_alu instid0(VALU_DEP_2) | instskip(NEXT) | instid1(VALU_DEP_2)
	;; [unrolled: 3-line block ×8, first 2 shown]
	v_add_f64_e32 v[2:3], v[2:3], v[98:99]
	v_add_f64_e32 v[44:45], v[0:1], v[190:191]
	v_add_f64_e64 v[0:1], v[152:153], -v[154:155]
	s_delay_alu instid0(VALU_DEP_3) | instskip(NEXT) | instid1(VALU_DEP_2)
	v_add_f64_e32 v[46:47], v[2:3], v[154:155]
	v_mul_f64_e32 v[2:3], s[48:49], v[0:1]
	s_delay_alu instid0(VALU_DEP_1) | instskip(SKIP_1) | instid1(VALU_DEP_2)
	v_fma_f64 v[152:153], v[160:161], s[22:23], -v[2:3]
	v_fma_f64 v[2:3], v[160:161], s[22:23], v[2:3]
	v_add_f64_e32 v[162:163], v[60:61], v[152:153]
	s_delay_alu instid0(VALU_DEP_2) | instskip(SKIP_2) | instid1(VALU_DEP_2)
	v_add_f64_e32 v[154:155], v[60:61], v[2:3]
	v_fma_f64 v[2:3], v[156:157], s[22:23], -v[158:159]
	v_fma_f64 v[152:153], v[156:157], s[22:23], v[158:159]
	v_add_f64_e32 v[158:159], v[62:63], v[2:3]
	v_mul_f64_e32 v[2:3], s[34:35], v[0:1]
	s_delay_alu instid0(VALU_DEP_3) | instskip(NEXT) | instid1(VALU_DEP_2)
	v_add_f64_e32 v[152:153], v[62:63], v[152:153]
	v_fma_f64 v[166:167], v[160:161], s[18:19], -v[2:3]
	v_fma_f64 v[2:3], v[160:161], s[18:19], v[2:3]
	s_delay_alu instid0(VALU_DEP_2) | instskip(NEXT) | instid1(VALU_DEP_2)
	v_add_f64_e32 v[166:167], v[60:61], v[166:167]
	v_add_f64_e32 v[170:171], v[60:61], v[2:3]
	v_fma_f64 v[2:3], v[156:157], s[18:19], -v[172:173]
	s_delay_alu instid0(VALU_DEP_1) | instskip(SKIP_1) | instid1(VALU_DEP_1)
	v_add_f64_e32 v[172:173], v[62:63], v[2:3]
	v_mul_f64_e32 v[2:3], s[40:41], v[0:1]
	v_fma_f64 v[174:175], v[160:161], s[2:3], -v[2:3]
	v_fma_f64 v[2:3], v[160:161], s[2:3], v[2:3]
	s_delay_alu instid0(VALU_DEP_2) | instskip(NEXT) | instid1(VALU_DEP_2)
	v_add_f64_e32 v[174:175], v[60:61], v[174:175]
	v_add_f64_e32 v[178:179], v[60:61], v[2:3]
	v_fma_f64 v[2:3], v[156:157], s[2:3], -v[180:181]
	s_delay_alu instid0(VALU_DEP_1) | instskip(SKIP_1) | instid1(VALU_DEP_1)
	v_add_f64_e32 v[180:181], v[62:63], v[2:3]
	v_mul_f64_e32 v[2:3], s[16:17], v[0:1]
	v_fma_f64 v[182:183], v[160:161], s[14:15], -v[2:3]
	v_fma_f64 v[2:3], v[160:161], s[14:15], v[2:3]
	s_delay_alu instid0(VALU_DEP_2) | instskip(NEXT) | instid1(VALU_DEP_2)
	v_add_f64_e32 v[182:183], v[60:61], v[182:183]
	v_add_f64_e32 v[186:187], v[60:61], v[2:3]
	v_fma_f64 v[2:3], v[156:157], s[14:15], -v[188:189]
	s_delay_alu instid0(VALU_DEP_1) | instskip(SKIP_2) | instid1(VALU_DEP_2)
	v_add_f64_e32 v[188:189], v[62:63], v[2:3]
	v_mul_f64_e32 v[2:3], s[26:27], v[0:1]
	v_mul_f64_e32 v[0:1], s[30:31], v[0:1]
	v_fma_f64 v[190:191], v[160:161], s[24:25], -v[2:3]
	v_fma_f64 v[2:3], v[160:161], s[24:25], v[2:3]
	s_delay_alu instid0(VALU_DEP_2) | instskip(NEXT) | instid1(VALU_DEP_2)
	v_add_f64_e32 v[190:191], v[60:61], v[190:191]
	v_add_f64_e32 v[194:195], v[60:61], v[2:3]
	v_fma_f64 v[2:3], v[156:157], s[24:25], -v[196:197]
	s_delay_alu instid0(VALU_DEP_1) | instskip(SKIP_4) | instid1(VALU_DEP_4)
	v_add_f64_e32 v[196:197], v[62:63], v[2:3]
	v_fma_f64 v[2:3], v[160:161], s[28:29], -v[0:1]
	v_fma_f64 v[0:1], v[160:161], s[28:29], v[0:1]
	v_add_f64_e32 v[160:161], v[100:101], v[102:103]
	v_add_f64_e64 v[100:101], v[100:101], -v[102:103]
	v_add_f64_e32 v[198:199], v[60:61], v[2:3]
	v_mul_f64_e32 v[2:3], s[30:31], v[164:165]
	v_add_f64_e32 v[60:61], v[60:61], v[0:1]
	s_delay_alu instid0(VALU_DEP_2) | instskip(SKIP_2) | instid1(VALU_DEP_3)
	v_fma_f64 v[164:165], v[156:157], s[28:29], v[2:3]
	v_fma_f64 v[0:1], v[156:157], s[28:29], -v[2:3]
	v_add_f64_e32 v[156:157], v[94:95], v[98:99]
	v_add_f64_e32 v[164:165], v[62:63], v[164:165]
	s_delay_alu instid0(VALU_DEP_3) | instskip(SKIP_2) | instid1(VALU_DEP_2)
	v_add_f64_e32 v[62:63], v[62:63], v[0:1]
	v_add_f64_e64 v[0:1], v[94:95], -v[98:99]
	v_mul_f64_e32 v[98:99], s[34:35], v[100:101]
	v_mul_f64_e32 v[2:3], s[34:35], v[0:1]
	s_delay_alu instid0(VALU_DEP_2) | instskip(SKIP_1) | instid1(VALU_DEP_3)
	v_fma_f64 v[102:103], v[156:157], s[18:19], v[98:99]
	v_fma_f64 v[98:99], v[156:157], s[18:19], -v[98:99]
	v_fma_f64 v[94:95], v[160:161], s[18:19], -v[2:3]
	s_delay_alu instid0(VALU_DEP_3)
	v_add_f64_e32 v[102:103], v[102:103], v[152:153]
	v_fma_f64 v[2:3], v[160:161], s[18:19], v[2:3]
	v_mul_f64_e32 v[152:153], s[16:17], v[0:1]
	v_add_f64_e32 v[98:99], v[98:99], v[158:159]
	v_mul_f64_e32 v[158:159], s[16:17], v[100:101]
	v_add_f64_e32 v[94:95], v[94:95], v[162:163]
	v_add_f64_e32 v[2:3], v[2:3], v[154:155]
	v_fma_f64 v[154:155], v[160:161], s[14:15], -v[152:153]
	v_fma_f64 v[152:153], v[160:161], s[14:15], v[152:153]
	v_fma_f64 v[162:163], v[156:157], s[14:15], v[158:159]
	v_fma_f64 v[158:159], v[156:157], s[14:15], -v[158:159]
	s_delay_alu instid0(VALU_DEP_4) | instskip(SKIP_1) | instid1(VALU_DEP_4)
	v_add_f64_e32 v[154:155], v[154:155], v[166:167]
	v_mul_f64_e32 v[166:167], s[30:31], v[0:1]
	v_add_f64_e32 v[162:163], v[162:163], v[168:169]
	v_add_f64_e32 v[152:153], v[152:153], v[170:171]
	v_mul_f64_e32 v[170:171], s[30:31], v[100:101]
	v_add_f64_e32 v[158:159], v[158:159], v[172:173]
	v_fma_f64 v[168:169], v[160:161], s[28:29], -v[166:167]
	v_fma_f64 v[166:167], v[160:161], s[28:29], v[166:167]
	s_delay_alu instid0(VALU_DEP_4) | instskip(SKIP_1) | instid1(VALU_DEP_4)
	v_fma_f64 v[172:173], v[156:157], s[28:29], v[170:171]
	v_fma_f64 v[170:171], v[156:157], s[28:29], -v[170:171]
	v_add_f64_e32 v[168:169], v[168:169], v[174:175]
	v_mul_f64_e32 v[174:175], s[44:45], v[0:1]
	v_add_f64_e32 v[166:167], v[166:167], v[178:179]
	v_add_f64_e32 v[172:173], v[172:173], v[176:177]
	v_mul_f64_e32 v[178:179], s[44:45], v[100:101]
	v_add_f64_e32 v[170:171], v[170:171], v[180:181]
	v_fma_f64 v[176:177], v[160:161], s[24:25], -v[174:175]
	v_fma_f64 v[174:175], v[160:161], s[24:25], v[174:175]
	s_delay_alu instid0(VALU_DEP_4) | instskip(SKIP_1) | instid1(VALU_DEP_4)
	v_fma_f64 v[180:181], v[156:157], s[24:25], v[178:179]
	v_fma_f64 v[178:179], v[156:157], s[24:25], -v[178:179]
	v_add_f64_e32 v[176:177], v[176:177], v[182:183]
	v_mul_f64_e32 v[182:183], s[20:21], v[0:1]
	v_add_f64_e32 v[174:175], v[174:175], v[186:187]
	v_add_f64_e32 v[180:181], v[180:181], v[184:185]
	v_mul_f64_e32 v[186:187], s[20:21], v[100:101]
	v_mul_f64_e32 v[0:1], s[38:39], v[0:1]
	v_add_f64_e32 v[178:179], v[178:179], v[188:189]
	v_mul_f64_e32 v[100:101], s[38:39], v[100:101]
	v_fma_f64 v[184:185], v[160:161], s[2:3], -v[182:183]
	v_fma_f64 v[182:183], v[160:161], s[2:3], v[182:183]
	v_fma_f64 v[188:189], v[156:157], s[2:3], v[186:187]
	v_fma_f64 v[186:187], v[156:157], s[2:3], -v[186:187]
	s_delay_alu instid0(VALU_DEP_4)
	v_add_f64_e32 v[184:185], v[184:185], v[190:191]
	v_fma_f64 v[190:191], v[160:161], s[22:23], -v[0:1]
	v_fma_f64 v[0:1], v[160:161], s[22:23], v[0:1]
	v_add_f64_e32 v[188:189], v[188:189], v[192:193]
	v_fma_f64 v[192:193], v[156:157], s[22:23], v[100:101]
	v_add_f64_e32 v[182:183], v[182:183], v[194:195]
	v_add_f64_e32 v[186:187], v[186:187], v[196:197]
	;; [unrolled: 1-line block ×4, first 2 shown]
	v_fma_f64 v[60:61], v[156:157], s[22:23], -v[100:101]
	v_add_f64_e32 v[100:101], v[86:87], v[92:93]
	v_add_f64_e64 v[86:87], v[86:87], -v[92:93]
	v_add_f64_e32 v[164:165], v[192:193], v[164:165]
	s_delay_alu instid0(VALU_DEP_4) | instskip(SKIP_1) | instid1(VALU_DEP_4)
	v_add_f64_e32 v[60:61], v[60:61], v[62:63]
	v_add_f64_e32 v[62:63], v[90:91], v[96:97]
	v_mul_f64_e32 v[92:93], s[40:41], v[86:87]
	v_add_f64_e64 v[90:91], v[90:91], -v[96:97]
	s_delay_alu instid0(VALU_DEP_2) | instskip(SKIP_1) | instid1(VALU_DEP_3)
	v_fma_f64 v[96:97], v[62:63], s[2:3], -v[92:93]
	v_fma_f64 v[92:93], v[62:63], s[2:3], v[92:93]
	v_mul_f64_e32 v[160:161], s[46:47], v[90:91]
	s_delay_alu instid0(VALU_DEP_3) | instskip(SKIP_1) | instid1(VALU_DEP_4)
	v_add_f64_e32 v[94:95], v[96:97], v[94:95]
	v_mul_f64_e32 v[96:97], s[40:41], v[90:91]
	v_add_f64_e32 v[2:3], v[92:93], v[2:3]
	s_delay_alu instid0(VALU_DEP_2) | instskip(SKIP_2) | instid1(VALU_DEP_3)
	v_fma_f64 v[156:157], v[100:101], s[2:3], v[96:97]
	v_fma_f64 v[92:93], v[100:101], s[2:3], -v[96:97]
	v_mul_f64_e32 v[96:97], s[30:31], v[86:87]
	v_add_f64_e32 v[102:103], v[156:157], v[102:103]
	s_delay_alu instid0(VALU_DEP_3) | instskip(NEXT) | instid1(VALU_DEP_3)
	v_add_f64_e32 v[92:93], v[92:93], v[98:99]
	v_fma_f64 v[98:99], v[62:63], s[28:29], -v[96:97]
	v_fma_f64 v[96:97], v[62:63], s[28:29], v[96:97]
	s_delay_alu instid0(VALU_DEP_2) | instskip(SKIP_1) | instid1(VALU_DEP_3)
	v_add_f64_e32 v[98:99], v[98:99], v[154:155]
	v_mul_f64_e32 v[154:155], s[30:31], v[90:91]
	v_add_f64_e32 v[96:97], v[96:97], v[152:153]
	s_delay_alu instid0(VALU_DEP_2) | instskip(SKIP_2) | instid1(VALU_DEP_3)
	v_fma_f64 v[156:157], v[100:101], s[28:29], v[154:155]
	v_fma_f64 v[152:153], v[100:101], s[28:29], -v[154:155]
	v_mul_f64_e32 v[154:155], s[46:47], v[86:87]
	v_add_f64_e32 v[156:157], v[156:157], v[162:163]
	s_delay_alu instid0(VALU_DEP_3) | instskip(NEXT) | instid1(VALU_DEP_3)
	v_add_f64_e32 v[152:153], v[152:153], v[158:159]
	v_fma_f64 v[158:159], v[62:63], s[14:15], -v[154:155]
	v_fma_f64 v[154:155], v[62:63], s[14:15], v[154:155]
	v_fma_f64 v[162:163], v[100:101], s[14:15], v[160:161]
	v_fma_f64 v[160:161], v[100:101], s[14:15], -v[160:161]
	s_delay_alu instid0(VALU_DEP_4) | instskip(NEXT) | instid1(VALU_DEP_4)
	v_add_f64_e32 v[158:159], v[158:159], v[168:169]
	v_add_f64_e32 v[154:155], v[154:155], v[166:167]
	v_mul_f64_e32 v[166:167], s[38:39], v[86:87]
	s_delay_alu instid0(VALU_DEP_4) | instskip(SKIP_2) | instid1(VALU_DEP_4)
	v_add_f64_e32 v[160:161], v[160:161], v[170:171]
	v_mul_f64_e32 v[170:171], s[38:39], v[90:91]
	v_add_f64_e32 v[162:163], v[162:163], v[172:173]
	v_fma_f64 v[168:169], v[62:63], s[22:23], -v[166:167]
	v_fma_f64 v[166:167], v[62:63], s[22:23], v[166:167]
	s_delay_alu instid0(VALU_DEP_4) | instskip(SKIP_1) | instid1(VALU_DEP_4)
	v_fma_f64 v[172:173], v[100:101], s[22:23], v[170:171]
	v_fma_f64 v[170:171], v[100:101], s[22:23], -v[170:171]
	v_add_f64_e32 v[168:169], v[168:169], v[176:177]
	s_delay_alu instid0(VALU_DEP_4)
	v_add_f64_e32 v[166:167], v[166:167], v[174:175]
	v_mul_f64_e32 v[174:175], s[34:35], v[86:87]
	v_mul_f64_e32 v[86:87], s[26:27], v[86:87]
	v_add_f64_e32 v[170:171], v[170:171], v[178:179]
	v_mul_f64_e32 v[178:179], s[34:35], v[90:91]
	v_mul_f64_e32 v[90:91], s[26:27], v[90:91]
	v_add_f64_e32 v[172:173], v[172:173], v[180:181]
	v_fma_f64 v[176:177], v[62:63], s[18:19], -v[174:175]
	v_fma_f64 v[174:175], v[62:63], s[18:19], v[174:175]
	v_fma_f64 v[180:181], v[100:101], s[18:19], v[178:179]
	v_fma_f64 v[178:179], v[100:101], s[18:19], -v[178:179]
	s_delay_alu instid0(VALU_DEP_4) | instskip(NEXT) | instid1(VALU_DEP_4)
	v_add_f64_e32 v[176:177], v[176:177], v[184:185]
	v_add_f64_e32 v[174:175], v[174:175], v[182:183]
	v_fma_f64 v[182:183], v[62:63], s[24:25], -v[86:87]
	v_fma_f64 v[62:63], v[62:63], s[24:25], v[86:87]
	v_add_f64_e32 v[86:87], v[80:81], v[84:85]
	v_add_f64_e64 v[80:81], v[80:81], -v[84:85]
	v_fma_f64 v[184:185], v[100:101], s[24:25], v[90:91]
	v_add_f64_e32 v[178:179], v[178:179], v[186:187]
	v_add_f64_e32 v[180:181], v[180:181], v[188:189]
	v_add_f64_e32 v[182:183], v[182:183], v[190:191]
	v_add_f64_e32 v[0:1], v[62:63], v[0:1]
	v_fma_f64 v[62:63], v[100:101], s[24:25], -v[90:91]
	v_mul_f64_e32 v[84:85], s[16:17], v[80:81]
	v_add_f64_e32 v[164:165], v[184:185], v[164:165]
	s_delay_alu instid0(VALU_DEP_3) | instskip(SKIP_2) | instid1(VALU_DEP_2)
	v_add_f64_e32 v[60:61], v[62:63], v[60:61]
	v_add_f64_e32 v[62:63], v[82:83], v[88:89]
	v_add_f64_e64 v[82:83], v[82:83], -v[88:89]
	v_fma_f64 v[88:89], v[62:63], s[14:15], -v[84:85]
	s_delay_alu instid0(VALU_DEP_2) | instskip(SKIP_1) | instid1(VALU_DEP_3)
	v_mul_f64_e32 v[90:91], s[16:17], v[82:83]
	v_fma_f64 v[84:85], v[62:63], s[14:15], v[84:85]
	v_add_f64_e32 v[88:89], v[88:89], v[94:95]
	s_delay_alu instid0(VALU_DEP_3) | instskip(NEXT) | instid1(VALU_DEP_3)
	v_fma_f64 v[94:95], v[86:87], s[14:15], v[90:91]
	v_add_f64_e32 v[2:3], v[84:85], v[2:3]
	v_fma_f64 v[84:85], v[86:87], s[14:15], -v[90:91]
	v_mul_f64_e32 v[90:91], s[44:45], v[80:81]
	s_delay_alu instid0(VALU_DEP_4) | instskip(NEXT) | instid1(VALU_DEP_3)
	v_add_f64_e32 v[94:95], v[94:95], v[102:103]
	v_add_f64_e32 v[84:85], v[84:85], v[92:93]
	s_delay_alu instid0(VALU_DEP_3) | instskip(SKIP_1) | instid1(VALU_DEP_2)
	v_fma_f64 v[92:93], v[62:63], s[24:25], -v[90:91]
	v_fma_f64 v[90:91], v[62:63], s[24:25], v[90:91]
	v_add_f64_e32 v[92:93], v[92:93], v[98:99]
	v_mul_f64_e32 v[98:99], s[44:45], v[82:83]
	s_delay_alu instid0(VALU_DEP_3) | instskip(NEXT) | instid1(VALU_DEP_2)
	v_add_f64_e32 v[90:91], v[90:91], v[96:97]
	v_fma_f64 v[100:101], v[86:87], s[24:25], v[98:99]
	v_fma_f64 v[96:97], v[86:87], s[24:25], -v[98:99]
	v_mul_f64_e32 v[98:99], s[38:39], v[80:81]
	s_delay_alu instid0(VALU_DEP_3) | instskip(NEXT) | instid1(VALU_DEP_3)
	v_add_f64_e32 v[100:101], v[100:101], v[156:157]
	v_add_f64_e32 v[96:97], v[96:97], v[152:153]
	s_delay_alu instid0(VALU_DEP_3) | instskip(SKIP_2) | instid1(VALU_DEP_3)
	v_fma_f64 v[102:103], v[62:63], s[22:23], -v[98:99]
	v_fma_f64 v[98:99], v[62:63], s[22:23], v[98:99]
	v_mul_f64_e32 v[152:153], s[38:39], v[82:83]
	v_add_f64_e32 v[102:103], v[102:103], v[158:159]
	s_delay_alu instid0(VALU_DEP_3) | instskip(SKIP_1) | instid1(VALU_DEP_4)
	v_add_f64_e32 v[98:99], v[98:99], v[154:155]
	v_mul_f64_e32 v[154:155], s[40:41], v[80:81]
	v_fma_f64 v[156:157], v[86:87], s[22:23], v[152:153]
	v_fma_f64 v[152:153], v[86:87], s[22:23], -v[152:153]
	s_delay_alu instid0(VALU_DEP_3) | instskip(SKIP_1) | instid1(VALU_DEP_3)
	v_fma_f64 v[158:159], v[62:63], s[2:3], -v[154:155]
	v_fma_f64 v[154:155], v[62:63], s[2:3], v[154:155]
	v_add_f64_e32 v[152:153], v[152:153], v[160:161]
	v_mul_f64_e32 v[160:161], s[40:41], v[82:83]
	v_add_f64_e32 v[156:157], v[156:157], v[162:163]
	v_add_f64_e32 v[158:159], v[158:159], v[168:169]
	;; [unrolled: 1-line block ×3, first 2 shown]
	v_mul_f64_e32 v[166:167], s[42:43], v[80:81]
	v_fma_f64 v[162:163], v[86:87], s[2:3], v[160:161]
	v_fma_f64 v[160:161], v[86:87], s[2:3], -v[160:161]
	v_mul_f64_e32 v[80:81], s[36:37], v[80:81]
	s_delay_alu instid0(VALU_DEP_4) | instskip(SKIP_1) | instid1(VALU_DEP_4)
	v_fma_f64 v[168:169], v[62:63], s[28:29], -v[166:167]
	v_fma_f64 v[166:167], v[62:63], s[28:29], v[166:167]
	v_add_f64_e32 v[160:161], v[160:161], v[170:171]
	v_mul_f64_e32 v[170:171], s[42:43], v[82:83]
	v_mul_f64_e32 v[82:83], s[36:37], v[82:83]
	v_add_f64_e32 v[162:163], v[162:163], v[172:173]
	v_add_f64_e32 v[168:169], v[168:169], v[176:177]
	;; [unrolled: 1-line block ×3, first 2 shown]
	v_fma_f64 v[174:175], v[62:63], s[18:19], -v[80:81]
	v_fma_f64 v[62:63], v[62:63], s[18:19], v[80:81]
	v_add_f64_e32 v[80:81], v[72:73], v[74:75]
	v_add_f64_e64 v[72:73], v[72:73], -v[74:75]
	v_fma_f64 v[176:177], v[86:87], s[18:19], v[82:83]
	v_fma_f64 v[172:173], v[86:87], s[28:29], v[170:171]
	v_fma_f64 v[170:171], v[86:87], s[28:29], -v[170:171]
	v_add_f64_e32 v[174:175], v[174:175], v[182:183]
	v_add_f64_e32 v[0:1], v[62:63], v[0:1]
	v_fma_f64 v[62:63], v[86:87], s[18:19], -v[82:83]
	v_mul_f64_e32 v[74:75], s[26:27], v[72:73]
	v_add_f64_e32 v[164:165], v[176:177], v[164:165]
	v_add_f64_e32 v[172:173], v[172:173], v[180:181]
	;; [unrolled: 1-line block ×5, first 2 shown]
	v_add_f64_e64 v[76:77], v[76:77], -v[78:79]
	s_delay_alu instid0(VALU_DEP_2) | instskip(NEXT) | instid1(VALU_DEP_2)
	v_fma_f64 v[78:79], v[62:63], s[24:25], -v[74:75]
	v_mul_f64_e32 v[82:83], s[26:27], v[76:77]
	v_fma_f64 v[74:75], v[62:63], s[24:25], v[74:75]
	s_delay_alu instid0(VALU_DEP_3) | instskip(NEXT) | instid1(VALU_DEP_3)
	v_add_f64_e32 v[78:79], v[78:79], v[88:89]
	v_fma_f64 v[86:87], v[80:81], s[24:25], v[82:83]
	s_delay_alu instid0(VALU_DEP_3) | instskip(SKIP_2) | instid1(VALU_DEP_4)
	v_add_f64_e32 v[2:3], v[74:75], v[2:3]
	v_fma_f64 v[74:75], v[80:81], s[24:25], -v[82:83]
	v_mul_f64_e32 v[82:83], s[20:21], v[72:73]
	v_add_f64_e32 v[176:177], v[86:87], v[94:95]
	s_delay_alu instid0(VALU_DEP_3) | instskip(NEXT) | instid1(VALU_DEP_3)
	v_add_f64_e32 v[74:75], v[74:75], v[84:85]
	v_fma_f64 v[84:85], v[62:63], s[2:3], -v[82:83]
	v_fma_f64 v[82:83], v[62:63], s[2:3], v[82:83]
	s_delay_alu instid0(VALU_DEP_2) | instskip(SKIP_1) | instid1(VALU_DEP_3)
	v_add_f64_e32 v[178:179], v[84:85], v[92:93]
	v_mul_f64_e32 v[84:85], s[20:21], v[76:77]
	v_add_f64_e32 v[182:183], v[82:83], v[90:91]
	v_add_f64_e32 v[90:91], v[68:69], v[70:71]
	s_delay_alu instid0(VALU_DEP_3) | instskip(SKIP_1) | instid1(VALU_DEP_2)
	v_fma_f64 v[82:83], v[80:81], s[2:3], -v[84:85]
	v_fma_f64 v[86:87], v[80:81], s[2:3], v[84:85]
	v_add_f64_e32 v[184:185], v[82:83], v[96:97]
	v_mul_f64_e32 v[82:83], s[34:35], v[72:73]
	s_delay_alu instid0(VALU_DEP_3) | instskip(SKIP_1) | instid1(VALU_DEP_3)
	v_add_f64_e32 v[180:181], v[86:87], v[100:101]
	v_add_f64_e64 v[96:97], v[68:69], -v[70:71]
	v_fma_f64 v[84:85], v[62:63], s[18:19], -v[82:83]
	v_fma_f64 v[82:83], v[62:63], s[18:19], v[82:83]
	s_delay_alu instid0(VALU_DEP_2) | instskip(SKIP_1) | instid1(VALU_DEP_3)
	v_add_f64_e32 v[186:187], v[84:85], v[102:103]
	v_mul_f64_e32 v[84:85], s[34:35], v[76:77]
	v_add_f64_e32 v[188:189], v[82:83], v[98:99]
	s_delay_alu instid0(VALU_DEP_2) | instskip(SKIP_1) | instid1(VALU_DEP_2)
	v_fma_f64 v[82:83], v[80:81], s[18:19], -v[84:85]
	v_fma_f64 v[86:87], v[80:81], s[18:19], v[84:85]
	v_add_f64_e32 v[190:191], v[82:83], v[152:153]
	v_mul_f64_e32 v[82:83], s[42:43], v[72:73]
	s_delay_alu instid0(VALU_DEP_3) | instskip(NEXT) | instid1(VALU_DEP_2)
	v_add_f64_e32 v[156:157], v[86:87], v[156:157]
	v_fma_f64 v[84:85], v[62:63], s[28:29], -v[82:83]
	v_fma_f64 v[82:83], v[62:63], s[28:29], v[82:83]
	s_delay_alu instid0(VALU_DEP_2) | instskip(SKIP_1) | instid1(VALU_DEP_3)
	v_add_f64_e32 v[158:159], v[84:85], v[158:159]
	v_mul_f64_e32 v[84:85], s[42:43], v[76:77]
	v_add_f64_e32 v[192:193], v[82:83], v[154:155]
	v_add_f64_e64 v[154:155], v[64:65], -v[66:67]
	s_delay_alu instid0(VALU_DEP_3) | instskip(SKIP_1) | instid1(VALU_DEP_2)
	v_fma_f64 v[82:83], v[80:81], s[28:29], -v[84:85]
	v_fma_f64 v[86:87], v[80:81], s[28:29], v[84:85]
	v_add_f64_e32 v[194:195], v[82:83], v[160:161]
	v_mul_f64_e32 v[82:83], s[38:39], v[72:73]
	v_mul_f64_e32 v[72:73], s[16:17], v[72:73]
	s_delay_alu instid0(VALU_DEP_4) | instskip(NEXT) | instid1(VALU_DEP_3)
	v_add_f64_e32 v[162:163], v[86:87], v[162:163]
	v_fma_f64 v[84:85], v[62:63], s[22:23], -v[82:83]
	v_fma_f64 v[82:83], v[62:63], s[22:23], v[82:83]
	s_delay_alu instid0(VALU_DEP_2) | instskip(SKIP_1) | instid1(VALU_DEP_3)
	v_add_f64_e32 v[152:153], v[84:85], v[168:169]
	v_mul_f64_e32 v[84:85], s[38:39], v[76:77]
	v_add_f64_e32 v[100:101], v[82:83], v[166:167]
	v_mul_f64_e32 v[76:77], s[16:17], v[76:77]
	s_delay_alu instid0(VALU_DEP_3) | instskip(SKIP_1) | instid1(VALU_DEP_2)
	v_fma_f64 v[82:83], v[80:81], s[22:23], -v[84:85]
	v_fma_f64 v[86:87], v[80:81], s[22:23], v[84:85]
	v_add_f64_e32 v[98:99], v[82:83], v[170:171]
	v_fma_f64 v[82:83], v[62:63], s[14:15], -v[72:73]
	v_fma_f64 v[62:63], v[62:63], s[14:15], v[72:73]
	s_delay_alu instid0(VALU_DEP_4)
	v_add_f64_e32 v[102:103], v[86:87], v[172:173]
	v_add_f64_e32 v[86:87], v[64:65], v[66:67]
	v_mul_f64_e32 v[64:65], s[30:31], v[96:97]
	v_add_f64_e32 v[94:95], v[82:83], v[174:175]
	v_add_f64_e32 v[88:89], v[62:63], v[0:1]
	v_fma_f64 v[0:1], v[80:81], s[14:15], -v[76:77]
	v_fma_f64 v[82:83], v[80:81], s[14:15], v[76:77]
	v_fma_f64 v[62:63], v[86:87], s[28:29], v[64:65]
	s_delay_alu instid0(VALU_DEP_3) | instskip(SKIP_1) | instid1(VALU_DEP_4)
	v_add_f64_e32 v[84:85], v[0:1], v[60:61]
	v_mul_f64_e32 v[0:1], s[30:31], v[154:155]
	v_add_f64_e32 v[92:93], v[82:83], v[164:165]
	s_delay_alu instid0(VALU_DEP_4) | instskip(NEXT) | instid1(VALU_DEP_3)
	v_add_f64_e32 v[62:63], v[62:63], v[176:177]
	v_fma_f64 v[60:61], v[90:91], s[28:29], -v[0:1]
	v_fma_f64 v[0:1], v[90:91], s[28:29], v[0:1]
	s_delay_alu instid0(VALU_DEP_2) | instskip(NEXT) | instid1(VALU_DEP_2)
	v_add_f64_e32 v[60:61], v[60:61], v[78:79]
	v_add_f64_e32 v[80:81], v[0:1], v[2:3]
	v_fma_f64 v[0:1], v[86:87], s[28:29], -v[64:65]
	s_delay_alu instid0(VALU_DEP_1) | instskip(SKIP_1) | instid1(VALU_DEP_1)
	v_add_f64_e32 v[82:83], v[0:1], v[74:75]
	v_mul_f64_e32 v[0:1], s[38:39], v[154:155]
	v_fma_f64 v[2:3], v[90:91], s[22:23], -v[0:1]
	v_fma_f64 v[0:1], v[90:91], s[22:23], v[0:1]
	s_delay_alu instid0(VALU_DEP_2) | instskip(SKIP_1) | instid1(VALU_DEP_3)
	v_add_f64_e32 v[64:65], v[2:3], v[178:179]
	v_mul_f64_e32 v[2:3], s[38:39], v[96:97]
	v_add_f64_e32 v[76:77], v[0:1], v[182:183]
	s_delay_alu instid0(VALU_DEP_2) | instskip(SKIP_1) | instid1(VALU_DEP_2)
	v_fma_f64 v[0:1], v[86:87], s[22:23], -v[2:3]
	v_fma_f64 v[66:67], v[86:87], s[22:23], v[2:3]
	v_add_f64_e32 v[78:79], v[0:1], v[184:185]
	v_mul_f64_e32 v[0:1], s[26:27], v[154:155]
	s_delay_alu instid0(VALU_DEP_3) | instskip(NEXT) | instid1(VALU_DEP_2)
	v_add_f64_e32 v[66:67], v[66:67], v[180:181]
	v_fma_f64 v[2:3], v[90:91], s[24:25], -v[0:1]
	v_fma_f64 v[0:1], v[90:91], s[24:25], v[0:1]
	s_delay_alu instid0(VALU_DEP_2) | instskip(SKIP_1) | instid1(VALU_DEP_3)
	v_add_f64_e32 v[68:69], v[2:3], v[186:187]
	v_mul_f64_e32 v[2:3], s[26:27], v[96:97]
	v_add_f64_e32 v[72:73], v[0:1], v[188:189]
	s_delay_alu instid0(VALU_DEP_2) | instskip(SKIP_1) | instid1(VALU_DEP_2)
	v_fma_f64 v[0:1], v[86:87], s[24:25], -v[2:3]
	v_fma_f64 v[70:71], v[86:87], s[24:25], v[2:3]
	v_add_f64_e32 v[74:75], v[0:1], v[190:191]
	v_mul_f64_e32 v[0:1], s[36:37], v[154:155]
	s_delay_alu instid0(VALU_DEP_3) | instskip(NEXT) | instid1(VALU_DEP_2)
	v_add_f64_e32 v[70:71], v[70:71], v[156:157]
	v_fma_f64 v[2:3], v[90:91], s[18:19], -v[0:1]
	v_fma_f64 v[0:1], v[90:91], s[18:19], v[0:1]
	s_delay_alu instid0(VALU_DEP_2) | instskip(SKIP_1) | instid1(VALU_DEP_3)
	v_add_f64_e32 v[156:157], v[2:3], v[158:159]
	v_mul_f64_e32 v[2:3], s[36:37], v[96:97]
	v_add_f64_e32 v[160:161], v[0:1], v[192:193]
	s_delay_alu instid0(VALU_DEP_2) | instskip(SKIP_1) | instid1(VALU_DEP_2)
	v_fma_f64 v[158:159], v[86:87], s[18:19], v[2:3]
	v_fma_f64 v[0:1], v[86:87], s[18:19], -v[2:3]
	v_add_f64_e32 v[158:159], v[158:159], v[162:163]
	s_delay_alu instid0(VALU_DEP_2) | instskip(SKIP_1) | instid1(VALU_DEP_1)
	v_add_f64_e32 v[162:163], v[0:1], v[194:195]
	v_mul_f64_e32 v[0:1], s[16:17], v[154:155]
	v_fma_f64 v[2:3], v[90:91], s[14:15], -v[0:1]
	v_fma_f64 v[0:1], v[90:91], s[14:15], v[0:1]
	s_delay_alu instid0(VALU_DEP_2) | instskip(SKIP_1) | instid1(VALU_DEP_3)
	v_add_f64_e32 v[164:165], v[2:3], v[152:153]
	v_mul_f64_e32 v[2:3], s[16:17], v[96:97]
	v_add_f64_e32 v[100:101], v[0:1], v[100:101]
	s_delay_alu instid0(VALU_DEP_2) | instskip(SKIP_1) | instid1(VALU_DEP_2)
	v_fma_f64 v[152:153], v[86:87], s[14:15], v[2:3]
	v_fma_f64 v[0:1], v[86:87], s[14:15], -v[2:3]
	v_add_f64_e32 v[166:167], v[152:153], v[102:103]
	s_delay_alu instid0(VALU_DEP_2) | instskip(SKIP_1) | instid1(VALU_DEP_1)
	v_add_f64_e32 v[102:103], v[0:1], v[98:99]
	v_mul_f64_e32 v[0:1], s[20:21], v[154:155]
	v_fma_f64 v[2:3], v[90:91], s[2:3], -v[0:1]
	v_fma_f64 v[0:1], v[90:91], s[2:3], v[0:1]
	s_delay_alu instid0(VALU_DEP_2) | instskip(SKIP_1) | instid1(VALU_DEP_3)
	v_add_f64_e32 v[94:95], v[2:3], v[94:95]
	v_mul_f64_e32 v[2:3], s[20:21], v[96:97]
	v_add_f64_e32 v[88:89], v[0:1], v[88:89]
	s_delay_alu instid0(VALU_DEP_2) | instskip(SKIP_1) | instid1(VALU_DEP_2)
	v_fma_f64 v[96:97], v[86:87], s[2:3], v[2:3]
	v_fma_f64 v[0:1], v[86:87], s[2:3], -v[2:3]
	v_add_f64_e32 v[96:97], v[96:97], v[92:93]
	s_delay_alu instid0(VALU_DEP_2) | instskip(SKIP_2) | instid1(VALU_DEP_1)
	v_add_f64_e32 v[90:91], v[0:1], v[84:85]
	s_wait_alu 0xf1ff
	v_cndmask_b32_e64 v0, 0, 0x152, s0
	v_add_lshl_u32 v237, v203, v0, 4
	v_and_b32_e32 v0, 0xffff, v204
	ds_store_b128 v237, v[4:7]
	ds_store_b128 v237, v[24:27] offset:416
	ds_store_b128 v237, v[28:31] offset:832
	;; [unrolled: 1-line block ×12, first 2 shown]
	v_mul_u32_u24_e32 v0, 0x152, v0
	s_delay_alu instid0(VALU_DEP_1)
	v_add_lshl_u32 v238, v0, v202, 4
	ds_store_b128 v238, v[44:47]
	ds_store_b128 v238, v[60:63] offset:416
	ds_store_b128 v238, v[64:67] offset:832
	;; [unrolled: 1-line block ×12, first 2 shown]
	global_wb scope:SCOPE_SE
	s_wait_dscnt 0x0
	s_barrier_signal -1
	s_barrier_wait -1
	global_inv scope:SCOPE_SE
	ds_load_b128 v[152:155], v234
	ds_load_b128 v[8:11], v234 offset:5408
	ds_load_b128 v[12:15], v234 offset:10816
	;; [unrolled: 1-line block ×23, first 2 shown]
	s_and_saveexec_b32 s1, s0
	s_wait_alu 0xfffe
	s_xor_b32 s0, exec_lo, s1
; %bb.2:
                                        ; implicit-def: $vgpr201
; %bb.3:
	s_wait_alu 0xfffe
	s_or_saveexec_b32 s0, s0
	v_add_co_u32 v168, s1, s8, v234
	s_wait_alu 0xf1ff
	v_add_co_ci_u32_e64 v169, null, s9, 0, s1
                                        ; implicit-def: $vgpr164_vgpr165
                                        ; implicit-def: $vgpr160_vgpr161
	s_wait_alu 0xfffe
	s_xor_b32 exec_lo, exec_lo, s0
	s_cbranch_execz .LBB0_5
; %bb.4:
	ds_load_b128 v[76:79], v234 offset:4992
	ds_load_b128 v[80:83], v234 offset:10400
	;; [unrolled: 1-line block ×4, first 2 shown]
	v_mov_b32_e32 v224, v201
.LBB0_5:
	s_or_b32 exec_lo, exec_lo, s0
	v_mad_co_u64_u32 v[0:1], null, v248, 48, s[10:11]
	global_load_b128 v[4:7], v[0:1], off offset:5376
	s_wait_loadcnt_dscnt 0x16
	v_mul_f64_e32 v[2:3], v[10:11], v[6:7]
	scratch_store_b128 off, v[4:7], off offset:848 ; 16-byte Folded Spill
	v_fma_f64 v[170:171], v[8:9], v[4:5], -v[2:3]
	v_mul_f64_e32 v[2:3], v[8:9], v[6:7]
	global_load_b128 v[6:9], v[0:1], off offset:5392
	v_fma_f64 v[172:173], v[10:11], v[4:5], v[2:3]
	s_wait_loadcnt_dscnt 0x15
	v_mul_f64_e32 v[2:3], v[14:15], v[8:9]
	v_mul_f64_e32 v[4:5], v[12:13], v[8:9]
	s_delay_alu instid0(VALU_DEP_2)
	v_fma_f64 v[2:3], v[12:13], v[6:7], -v[2:3]
	global_load_b128 v[10:13], v[0:1], off offset:5408
	scratch_store_b128 off, v[6:9], off offset:864 ; 16-byte Folded Spill
	v_fma_f64 v[4:5], v[14:15], v[6:7], v[4:5]
	s_wait_loadcnt 0x0
	scratch_store_b128 off, v[10:13], off offset:880 ; 16-byte Folded Spill
	s_wait_dscnt 0x14
	v_mul_f64_e32 v[6:7], v[18:19], v[12:13]
	v_mul_f64_e32 v[8:9], v[16:17], v[12:13]
	global_load_b128 v[12:15], v[0:1], off offset:7872
	v_fma_f64 v[6:7], v[16:17], v[10:11], -v[6:7]
	v_fma_f64 v[8:9], v[18:19], v[10:11], v[8:9]
	s_delay_alu instid0(VALU_DEP_2)
	v_add_f64_e64 v[232:233], v[170:171], -v[6:7]
	s_wait_loadcnt_dscnt 0x12
	v_mul_f64_e32 v[10:11], v[22:23], v[14:15]
	scratch_store_b128 off, v[12:15], off offset:896 ; 16-byte Folded Spill
	v_fma_f64 v[174:175], v[20:21], v[12:13], -v[10:11]
	v_mul_f64_e32 v[10:11], v[20:21], v[14:15]
	s_delay_alu instid0(VALU_DEP_1) | instskip(SKIP_3) | instid1(VALU_DEP_1)
	v_fma_f64 v[176:177], v[22:23], v[12:13], v[10:11]
	global_load_b128 v[20:23], v[0:1], off offset:7888
	s_wait_loadcnt_dscnt 0x11
	v_mul_f64_e32 v[10:11], v[26:27], v[22:23]
	v_fma_f64 v[190:191], v[24:25], v[20:21], -v[10:11]
	v_mul_f64_e32 v[10:11], v[24:25], v[22:23]
	s_delay_alu instid0(VALU_DEP_1) | instskip(SKIP_3) | instid1(VALU_DEP_1)
	v_fma_f64 v[194:195], v[26:27], v[20:21], v[10:11]
	global_load_b128 v[24:27], v[0:1], off offset:7904
	s_wait_loadcnt_dscnt 0x10
	v_mul_f64_e32 v[10:11], v[30:31], v[26:27]
	;; [unrolled: 7-line block ×5, first 2 shown]
	v_fma_f64 v[204:205], v[40:41], v[36:37], -v[10:11]
	v_mul_f64_e32 v[10:11], v[40:41], v[38:39]
	s_delay_alu instid0(VALU_DEP_2) | instskip(NEXT) | instid1(VALU_DEP_2)
	v_add_f64_e64 v[18:19], v[178:179], -v[204:205]
	v_fma_f64 v[208:209], v[42:43], v[36:37], v[10:11]
	global_load_b128 v[40:43], v[0:1], off offset:12864
	v_add_f64_e64 v[16:17], v[180:181], -v[208:209]
	s_wait_loadcnt_dscnt 0xa
	v_mul_f64_e32 v[10:11], v[46:47], v[42:43]
	s_delay_alu instid0(VALU_DEP_1) | instskip(SKIP_1) | instid1(VALU_DEP_1)
	v_fma_f64 v[182:183], v[44:45], v[40:41], -v[10:11]
	v_mul_f64_e32 v[10:11], v[44:45], v[42:43]
	v_fma_f64 v[184:185], v[46:47], v[40:41], v[10:11]
	global_load_b128 v[44:47], v[0:1], off offset:12880
	s_wait_loadcnt_dscnt 0x9
	v_mul_f64_e32 v[10:11], v[50:51], v[46:47]
	s_delay_alu instid0(VALU_DEP_1) | instskip(SKIP_1) | instid1(VALU_DEP_1)
	v_fma_f64 v[210:211], v[48:49], v[44:45], -v[10:11]
	v_mul_f64_e32 v[10:11], v[48:49], v[46:47]
	v_fma_f64 v[230:231], v[50:51], v[44:45], v[10:11]
	global_load_b128 v[48:51], v[0:1], off offset:12896
	s_wait_loadcnt_dscnt 0x8
	v_mul_f64_e32 v[10:11], v[54:55], v[50:51]
	s_delay_alu instid0(VALU_DEP_1) | instskip(SKIP_1) | instid1(VALU_DEP_2)
	v_fma_f64 v[228:229], v[52:53], v[48:49], -v[10:11]
	v_mul_f64_e32 v[10:11], v[52:53], v[50:51]
	v_add_f64_e64 v[204:205], v[182:183], -v[228:229]
	s_delay_alu instid0(VALU_DEP_2) | instskip(SKIP_3) | instid1(VALU_DEP_1)
	v_fma_f64 v[240:241], v[54:55], v[48:49], v[10:11]
	global_load_b128 v[52:55], v[0:1], off offset:15360
	s_wait_loadcnt_dscnt 0x6
	v_mul_f64_e32 v[10:11], v[58:59], v[54:55]
	v_fma_f64 v[186:187], v[56:57], v[52:53], -v[10:11]
	v_mul_f64_e32 v[10:11], v[56:57], v[54:55]
	s_delay_alu instid0(VALU_DEP_1) | instskip(SKIP_3) | instid1(VALU_DEP_1)
	v_fma_f64 v[188:189], v[58:59], v[52:53], v[10:11]
	global_load_b128 v[56:59], v[0:1], off offset:15376
	s_wait_loadcnt_dscnt 0x5
	v_mul_f64_e32 v[10:11], v[62:63], v[58:59]
	v_fma_f64 v[242:243], v[60:61], v[56:57], -v[10:11]
	v_mul_f64_e32 v[10:11], v[60:61], v[58:59]
	s_delay_alu instid0(VALU_DEP_1) | instskip(SKIP_3) | instid1(VALU_DEP_1)
	v_fma_f64 v[214:215], v[62:63], v[56:57], v[10:11]
	global_load_b128 v[60:63], v[0:1], off offset:15392
	s_wait_loadcnt_dscnt 0x4
	v_mul_f64_e32 v[10:11], v[66:67], v[62:63]
	v_fma_f64 v[212:213], v[64:65], v[60:61], -v[10:11]
	v_mul_f64_e32 v[10:11], v[64:65], v[62:63]
	s_delay_alu instid0(VALU_DEP_2) | instskip(NEXT) | instid1(VALU_DEP_2)
	v_add_f64_e64 v[212:213], v[186:187], -v[212:213]
	v_fma_f64 v[216:217], v[66:67], v[60:61], v[10:11]
	global_load_b128 v[64:67], v[0:1], off offset:17856
	s_wait_loadcnt_dscnt 0x2
	v_mul_f64_e32 v[10:11], v[70:71], v[66:67]
	s_delay_alu instid0(VALU_DEP_1) | instskip(SKIP_1) | instid1(VALU_DEP_1)
	v_fma_f64 v[198:199], v[68:69], v[64:65], -v[10:11]
	v_mul_f64_e32 v[10:11], v[68:69], v[66:67]
	v_fma_f64 v[200:201], v[70:71], v[64:65], v[10:11]
	global_load_b128 v[68:71], v[0:1], off offset:17872
	s_wait_loadcnt_dscnt 0x1
	v_mul_f64_e32 v[10:11], v[74:75], v[70:71]
	s_delay_alu instid0(VALU_DEP_1) | instskip(SKIP_1) | instid1(VALU_DEP_1)
	v_fma_f64 v[218:219], v[72:73], v[68:69], -v[10:11]
	v_mul_f64_e32 v[10:11], v[72:73], v[70:71]
	v_fma_f64 v[222:223], v[74:75], v[68:69], v[10:11]
	global_load_b128 v[72:75], v[0:1], off offset:17888
	s_wait_loadcnt_dscnt 0x0
	v_mul_f64_e32 v[0:1], v[158:159], v[74:75]
	s_delay_alu instid0(VALU_DEP_1) | instskip(SKIP_1) | instid1(VALU_DEP_1)
	v_fma_f64 v[220:221], v[156:157], v[72:73], -v[0:1]
	v_mul_f64_e32 v[0:1], v[156:157], v[74:75]
	v_fma_f64 v[156:157], v[158:159], v[72:73], v[0:1]
	v_mul_i32_i24_e32 v0, 48, v224
	v_mul_hi_i32_i24_e32 v1, 48, v224
	s_delay_alu instid0(VALU_DEP_2) | instskip(SKIP_1) | instid1(VALU_DEP_2)
	v_add_co_u32 v0, s0, s10, v0
	s_wait_alu 0xf1ff
	v_add_co_ci_u32_e64 v1, s0, s11, v1, s0
	global_load_b128 v[12:15], v[0:1], off offset:5376
	v_add_f64_e64 v[156:157], v[200:201], -v[156:157]
	s_wait_loadcnt 0x0
	v_mul_f64_e32 v[10:11], v[82:83], v[14:15]
	scratch_store_b128 off, v[12:15], off offset:912 ; 16-byte Folded Spill
	v_fma_f64 v[158:159], v[80:81], v[12:13], -v[10:11]
	v_mul_f64_e32 v[10:11], v[80:81], v[14:15]
	s_delay_alu instid0(VALU_DEP_1)
	v_fma_f64 v[224:225], v[82:83], v[12:13], v[10:11]
	global_load_b128 v[12:15], v[0:1], off offset:5392
	s_wait_loadcnt 0x0
	v_mul_f64_e32 v[10:11], v[162:163], v[14:15]
	scratch_store_b128 off, v[12:15], off offset:928 ; 16-byte Folded Spill
	v_fma_f64 v[226:227], v[160:161], v[12:13], -v[10:11]
	v_mul_f64_e32 v[10:11], v[160:161], v[14:15]
	s_delay_alu instid0(VALU_DEP_1)
	v_fma_f64 v[160:161], v[162:163], v[12:13], v[10:11]
	global_load_b128 v[10:13], v[0:1], off offset:5408
	s_wait_loadcnt 0x0
	v_mul_f64_e32 v[0:1], v[166:167], v[12:13]
	scratch_store_b128 off, v[10:13], off offset:944 ; 16-byte Folded Spill
	v_fma_f64 v[162:163], v[164:165], v[10:11], -v[0:1]
	v_mul_f64_e32 v[0:1], v[164:165], v[12:13]
	s_delay_alu instid0(VALU_DEP_1)
	v_fma_f64 v[164:165], v[166:167], v[10:11], v[0:1]
	v_add_f64_e64 v[0:1], v[152:153], -v[2:3]
	v_add_f64_e64 v[2:3], v[154:155], -v[4:5]
	;; [unrolled: 1-line block ×5, first 2 shown]
	v_fma_f64 v[152:153], v[152:153], 2.0, -v[0:1]
	v_add_f64_e32 v[246:247], v[2:3], v[232:233]
	v_add_f64_e64 v[244:245], v[0:1], -v[166:167]
	v_fma_f64 v[154:155], v[154:155], 2.0, -v[2:3]
	s_delay_alu instid0(VALU_DEP_3) | instskip(NEXT) | instid1(VALU_DEP_3)
	v_fma_f64 v[82:83], v[2:3], 2.0, -v[246:247]
	v_fma_f64 v[80:81], v[0:1], 2.0, -v[244:245]
	v_add_f64_e64 v[0:1], v[100:101], -v[190:191]
	v_add_f64_e64 v[2:3], v[102:103], -v[194:195]
	s_delay_alu instid0(VALU_DEP_2) | instskip(NEXT) | instid1(VALU_DEP_2)
	v_fma_f64 v[4:5], v[100:101], 2.0, -v[0:1]
	v_fma_f64 v[6:7], v[102:103], 2.0, -v[2:3]
	v_add_f64_e64 v[100:101], v[0:1], -v[8:9]
	v_add_f64_e32 v[102:103], v[2:3], v[10:11]
	ds_store_b128 v234, v[244:247] offset:16224
	v_fma_f64 v[190:191], v[0:1], 2.0, -v[100:101]
	ds_store_b128 v234, v[100:103] offset:17056
	v_fma_f64 v[192:193], v[2:3], 2.0, -v[102:103]
	v_add_f64_e64 v[0:1], v[96:97], -v[202:203]
	v_add_f64_e64 v[2:3], v[98:99], -v[206:207]
	;; [unrolled: 1-line block ×3, first 2 shown]
	s_delay_alu instid0(VALU_DEP_3) | instskip(NEXT) | instid1(VALU_DEP_3)
	v_fma_f64 v[12:13], v[96:97], 2.0, -v[0:1]
	v_fma_f64 v[14:15], v[98:99], 2.0, -v[2:3]
	v_add_f64_e64 v[96:97], v[0:1], -v[16:17]
	v_add_f64_e32 v[98:99], v[2:3], v[18:19]
	s_delay_alu instid0(VALU_DEP_2) | instskip(NEXT) | instid1(VALU_DEP_2)
	v_fma_f64 v[100:101], v[0:1], 2.0, -v[96:97]
	v_fma_f64 v[102:103], v[2:3], 2.0, -v[98:99]
	v_add_f64_e64 v[0:1], v[92:93], -v[210:211]
	v_add_f64_e64 v[2:3], v[94:95], -v[230:231]
	;; [unrolled: 1-line block ×3, first 2 shown]
	s_delay_alu instid0(VALU_DEP_3) | instskip(NEXT) | instid1(VALU_DEP_3)
	v_fma_f64 v[194:195], v[92:93], 2.0, -v[0:1]
	v_fma_f64 v[196:197], v[94:95], 2.0, -v[2:3]
	v_add_f64_e64 v[92:93], v[0:1], -v[202:203]
	v_add_f64_e32 v[94:95], v[2:3], v[204:205]
	ds_store_b128 v234, v[96:99] offset:17888
	v_fma_f64 v[96:97], v[0:1], 2.0, -v[92:93]
	ds_store_b128 v234, v[92:95] offset:18720
	v_fma_f64 v[98:99], v[2:3], 2.0, -v[94:95]
	v_add_f64_e64 v[0:1], v[88:89], -v[242:243]
	v_add_f64_e64 v[2:3], v[90:91], -v[214:215]
	s_delay_alu instid0(VALU_DEP_2) | instskip(NEXT) | instid1(VALU_DEP_2)
	v_fma_f64 v[206:207], v[88:89], 2.0, -v[0:1]
	v_fma_f64 v[208:209], v[90:91], 2.0, -v[2:3]
	v_add_f64_e64 v[88:89], v[0:1], -v[210:211]
	v_add_f64_e32 v[90:91], v[2:3], v[212:213]
	s_delay_alu instid0(VALU_DEP_2) | instskip(NEXT) | instid1(VALU_DEP_2)
	v_fma_f64 v[92:93], v[0:1], 2.0, -v[88:89]
	v_fma_f64 v[94:95], v[2:3], 2.0, -v[90:91]
	v_add_f64_e64 v[0:1], v[84:85], -v[218:219]
	v_add_f64_e64 v[2:3], v[86:87], -v[222:223]
	;; [unrolled: 1-line block ×3, first 2 shown]
	ds_store_b128 v234, v[88:91] offset:19552
	v_fma_f64 v[214:215], v[84:85], 2.0, -v[0:1]
	v_fma_f64 v[216:217], v[86:87], 2.0, -v[2:3]
	v_add_f64_e64 v[84:85], v[0:1], -v[156:157]
	v_add_f64_e32 v[86:87], v[2:3], v[218:219]
	ds_store_b128 v234, v[84:87] offset:20384
	ds_store_b128 v234, v[80:83] offset:5408
	v_fma_f64 v[88:89], v[0:1], 2.0, -v[84:85]
	v_fma_f64 v[90:91], v[2:3], 2.0, -v[86:87]
	;; [unrolled: 1-line block ×4, first 2 shown]
	s_delay_alu instid0(VALU_DEP_2) | instskip(NEXT) | instid1(VALU_DEP_2)
	v_add_f64_e64 v[80:81], v[152:153], -v[0:1]
	v_add_f64_e64 v[82:83], v[154:155], -v[2:3]
	v_fma_f64 v[0:1], v[174:175], 2.0, -v[10:11]
	v_fma_f64 v[2:3], v[176:177], 2.0, -v[8:9]
	ds_store_b128 v234, v[80:83] offset:10816
	ds_store_b128 v234, v[190:193] offset:6240
	v_fma_f64 v[84:85], v[152:153], 2.0, -v[80:81]
	v_fma_f64 v[86:87], v[154:155], 2.0, -v[82:83]
	v_add_f64_e64 v[80:81], v[4:5], -v[0:1]
	v_add_f64_e64 v[82:83], v[6:7], -v[2:3]
	v_fma_f64 v[0:1], v[178:179], 2.0, -v[18:19]
	v_fma_f64 v[2:3], v[180:181], 2.0, -v[16:17]
	ds_store_b128 v234, v[80:83] offset:11648
	ds_store_b128 v234, v[100:103] offset:7072
	v_fma_f64 v[152:153], v[4:5], 2.0, -v[80:81]
	v_fma_f64 v[154:155], v[6:7], 2.0, -v[82:83]
	;; [unrolled: 8-line block ×5, first 2 shown]
	v_add_f64_e64 v[80:81], v[214:215], -v[0:1]
	v_add_f64_e64 v[82:83], v[216:217], -v[2:3]
	v_add_f64_e64 v[0:1], v[158:159], -v[162:163]
	v_add_f64_e64 v[2:3], v[224:225], -v[164:165]
	s_delay_alu instid0(VALU_DEP_4) | instskip(NEXT) | instid1(VALU_DEP_4)
	v_fma_f64 v[88:89], v[214:215], 2.0, -v[80:81]
	v_fma_f64 v[90:91], v[216:217], 2.0, -v[82:83]
	ds_store_b128 v234, v[80:83] offset:14976
	ds_store_b128 v234, v[84:87]
	ds_store_b128 v234, v[152:155] offset:832
	ds_store_b128 v234, v[100:103] offset:1664
	;; [unrolled: 1-line block ×5, first 2 shown]
	v_add_f64_e64 v[80:81], v[76:77], -v[226:227]
	v_add_f64_e64 v[82:83], v[78:79], -v[160:161]
	v_fma_f64 v[4:5], v[158:159], 2.0, -v[0:1]
	v_fma_f64 v[6:7], v[224:225], 2.0, -v[2:3]
	v_add_nc_u32_e32 v93, 0xd00, v239
	v_add_nc_u32_e32 v92, 0x1380, v239
	;; [unrolled: 1-line block ×10, first 2 shown]
	v_fma_f64 v[76:77], v[76:77], 2.0, -v[80:81]
	v_fma_f64 v[78:79], v[78:79], 2.0, -v[82:83]
	v_add_f64_e64 v[8:9], v[80:81], -v[2:3]
	v_add_f64_e32 v[10:11], v[82:83], v[0:1]
	s_delay_alu instid0(VALU_DEP_4) | instskip(NEXT) | instid1(VALU_DEP_4)
	v_add_f64_e64 v[0:1], v[76:77], -v[4:5]
	v_add_f64_e64 v[2:3], v[78:79], -v[6:7]
	s_clause 0x1
	scratch_store_b128 off, v[8:11], off offset:16
	scratch_store_b128 off, v[0:3], off
	s_and_saveexec_b32 s0, vcc_lo
	s_cbranch_execz .LBB0_7
; %bb.6:
	s_clause 0x1
	scratch_load_b128 v[4:7], off, off offset:16
	scratch_load_b128 v[0:3], off, off
	s_wait_loadcnt 0x1
	v_fma_f64 v[82:83], v[82:83], 2.0, -v[6:7]
	s_wait_loadcnt 0x0
	v_fma_f64 v[78:79], v[78:79], 2.0, -v[2:3]
	v_fma_f64 v[76:77], v[76:77], 2.0, -v[0:1]
	;; [unrolled: 1-line block ×3, first 2 shown]
	ds_store_b128 v234, v[0:3] offset:15808
	ds_store_b128 v234, v[76:79] offset:4992
	;; [unrolled: 1-line block ×4, first 2 shown]
.LBB0_7:
	s_wait_alu 0xfffe
	s_or_b32 exec_lo, exec_lo, s0
	global_wb scope:SCOPE_SE
	s_wait_storecnt_dscnt 0x0
	s_barrier_signal -1
	s_barrier_wait -1
	global_inv scope:SCOPE_SE
	global_load_b128 v[80:83], v[168:169], off offset:21632
	ds_load_b128 v[76:79], v234
	s_add_nc_u64 s[0:1], s[8:9], 0x5480
	scratch_store_b32 off, v248, off offset:40 ; 4-byte Folded Spill
	s_mov_b32 s26, 0x4267c47c
	s_mov_b32 s27, 0xbfddbe06
	;; [unrolled: 1-line block ×10, first 2 shown]
	s_wait_alu 0xfffe
	s_mov_b32 s22, s26
	s_mov_b32 s11, 0xbfea55e2
	;; [unrolled: 1-line block ×21, first 2 shown]
	s_wait_loadcnt_dscnt 0x0
	v_mul_f64_e32 v[0:1], v[78:79], v[82:83]
	s_delay_alu instid0(VALU_DEP_1) | instskip(SKIP_2) | instid1(VALU_DEP_2)
	v_fma_f64 v[94:95], v[76:77], v[80:81], -v[0:1]
	v_mul_f64_e32 v[0:1], v[76:77], v[82:83]
	v_lshlrev_b32_e32 v76, 4, v248
	v_fma_f64 v[96:97], v[78:79], v[80:81], v[0:1]
	ds_load_b128 v[77:80], v234 offset:10816
	ds_store_b128 v234, v[94:97]
	global_load_b128 v[94:97], v76, s[0:1] offset:10816
	s_wait_loadcnt_dscnt 0x1
	v_mul_f64_e32 v[0:1], v[79:80], v[96:97]
	s_delay_alu instid0(VALU_DEP_1) | instskip(SKIP_1) | instid1(VALU_DEP_1)
	v_fma_f64 v[98:99], v[77:78], v[94:95], -v[0:1]
	v_mul_f64_e32 v[0:1], v[77:78], v[96:97]
	v_fma_f64 v[100:101], v[79:80], v[94:95], v[0:1]
	global_load_b128 v[94:97], v76, s[0:1] offset:832
	ds_load_b128 v[77:80], v234 offset:832
	ds_store_b128 v234, v[98:101] offset:10816
	s_wait_loadcnt_dscnt 0x1
	v_mul_f64_e32 v[0:1], v[79:80], v[96:97]
	s_delay_alu instid0(VALU_DEP_1) | instskip(SKIP_1) | instid1(VALU_DEP_1)
	v_fma_f64 v[98:99], v[77:78], v[94:95], -v[0:1]
	v_mul_f64_e32 v[0:1], v[77:78], v[96:97]
	v_fma_f64 v[100:101], v[79:80], v[94:95], v[0:1]
	global_load_b128 v[94:97], v76, s[0:1] offset:11648
	ds_load_b128 v[77:80], v234 offset:11648
	ds_store_b128 v234, v[98:101] offset:832
	s_wait_loadcnt_dscnt 0x1
	v_mul_f64_e32 v[0:1], v[79:80], v[96:97]
	s_delay_alu instid0(VALU_DEP_1) | instskip(SKIP_1) | instid1(VALU_DEP_1)
	v_fma_f64 v[98:99], v[77:78], v[94:95], -v[0:1]
	v_mul_f64_e32 v[0:1], v[77:78], v[96:97]
	v_fma_f64 v[100:101], v[79:80], v[94:95], v[0:1]
	global_load_b128 v[94:97], v76, s[0:1] offset:1664
	ds_load_b128 v[77:80], v234 offset:1664
	ds_store_b128 v234, v[98:101] offset:11648
	s_wait_loadcnt_dscnt 0x1
	v_mul_f64_e32 v[0:1], v[79:80], v[96:97]
	s_delay_alu instid0(VALU_DEP_1) | instskip(SKIP_1) | instid1(VALU_DEP_1)
	v_fma_f64 v[98:99], v[77:78], v[94:95], -v[0:1]
	v_mul_f64_e32 v[0:1], v[77:78], v[96:97]
	v_fma_f64 v[100:101], v[79:80], v[94:95], v[0:1]
	global_load_b128 v[94:97], v76, s[0:1] offset:12480
	ds_load_b128 v[77:80], v234 offset:12480
	ds_store_b128 v234, v[98:101] offset:1664
	s_wait_loadcnt_dscnt 0x1
	v_mul_f64_e32 v[0:1], v[79:80], v[96:97]
	s_delay_alu instid0(VALU_DEP_1) | instskip(SKIP_1) | instid1(VALU_DEP_1)
	v_fma_f64 v[98:99], v[77:78], v[94:95], -v[0:1]
	v_mul_f64_e32 v[0:1], v[77:78], v[96:97]
	v_fma_f64 v[100:101], v[79:80], v[94:95], v[0:1]
	global_load_b128 v[94:97], v76, s[0:1] offset:2496
	ds_load_b128 v[77:80], v234 offset:2496
	ds_store_b128 v234, v[98:101] offset:12480
	s_wait_loadcnt_dscnt 0x1
	v_mul_f64_e32 v[0:1], v[79:80], v[96:97]
	s_delay_alu instid0(VALU_DEP_1) | instskip(SKIP_1) | instid1(VALU_DEP_1)
	v_fma_f64 v[98:99], v[77:78], v[94:95], -v[0:1]
	v_mul_f64_e32 v[0:1], v[77:78], v[96:97]
	v_fma_f64 v[100:101], v[79:80], v[94:95], v[0:1]
	global_load_b128 v[94:97], v76, s[0:1] offset:13312
	ds_load_b128 v[77:80], v234 offset:13312
	ds_store_b128 v234, v[98:101] offset:2496
	s_wait_loadcnt_dscnt 0x1
	v_mul_f64_e32 v[0:1], v[79:80], v[96:97]
	s_delay_alu instid0(VALU_DEP_1) | instskip(SKIP_1) | instid1(VALU_DEP_1)
	v_fma_f64 v[98:99], v[77:78], v[94:95], -v[0:1]
	v_mul_f64_e32 v[0:1], v[77:78], v[96:97]
	v_fma_f64 v[100:101], v[79:80], v[94:95], v[0:1]
	global_load_b128 v[94:97], v76, s[0:1] offset:3328
	ds_load_b128 v[77:80], v234 offset:3328
	ds_store_b128 v234, v[98:101] offset:13312
	s_wait_loadcnt_dscnt 0x1
	v_mul_f64_e32 v[0:1], v[79:80], v[96:97]
	s_delay_alu instid0(VALU_DEP_1) | instskip(SKIP_1) | instid1(VALU_DEP_1)
	v_fma_f64 v[98:99], v[77:78], v[94:95], -v[0:1]
	v_mul_f64_e32 v[0:1], v[77:78], v[96:97]
	v_fma_f64 v[100:101], v[79:80], v[94:95], v[0:1]
	global_load_b128 v[94:97], v76, s[0:1] offset:14144
	ds_load_b128 v[77:80], v234 offset:14144
	ds_store_b128 v234, v[98:101] offset:3328
	s_wait_loadcnt_dscnt 0x1
	v_mul_f64_e32 v[0:1], v[79:80], v[96:97]
	s_delay_alu instid0(VALU_DEP_1) | instskip(SKIP_1) | instid1(VALU_DEP_1)
	v_fma_f64 v[98:99], v[77:78], v[94:95], -v[0:1]
	v_mul_f64_e32 v[0:1], v[77:78], v[96:97]
	v_fma_f64 v[100:101], v[79:80], v[94:95], v[0:1]
	global_load_b128 v[94:97], v76, s[0:1] offset:4160
	ds_load_b128 v[77:80], v234 offset:4160
	ds_store_b128 v234, v[98:101] offset:14144
	s_wait_loadcnt_dscnt 0x1
	v_mul_f64_e32 v[0:1], v[79:80], v[96:97]
	s_delay_alu instid0(VALU_DEP_1) | instskip(SKIP_1) | instid1(VALU_DEP_1)
	v_fma_f64 v[98:99], v[77:78], v[94:95], -v[0:1]
	v_mul_f64_e32 v[0:1], v[77:78], v[96:97]
	v_fma_f64 v[100:101], v[79:80], v[94:95], v[0:1]
	global_load_b128 v[94:97], v76, s[0:1] offset:14976
	ds_load_b128 v[77:80], v234 offset:14976
	ds_store_b128 v234, v[98:101] offset:4160
	s_wait_loadcnt_dscnt 0x1
	v_mul_f64_e32 v[0:1], v[79:80], v[96:97]
	s_delay_alu instid0(VALU_DEP_1) | instskip(SKIP_1) | instid1(VALU_DEP_1)
	v_fma_f64 v[98:99], v[77:78], v[94:95], -v[0:1]
	v_mul_f64_e32 v[0:1], v[77:78], v[96:97]
	v_fma_f64 v[100:101], v[79:80], v[94:95], v[0:1]
	global_load_b128 v[94:97], v76, s[0:1] offset:4992
	ds_load_b128 v[77:80], v234 offset:4992
	ds_store_b128 v234, v[98:101] offset:14976
	s_wait_loadcnt_dscnt 0x1
	v_mul_f64_e32 v[0:1], v[79:80], v[96:97]
	s_delay_alu instid0(VALU_DEP_1) | instskip(SKIP_1) | instid1(VALU_DEP_1)
	v_fma_f64 v[98:99], v[77:78], v[94:95], -v[0:1]
	v_mul_f64_e32 v[0:1], v[77:78], v[96:97]
	v_fma_f64 v[100:101], v[79:80], v[94:95], v[0:1]
	global_load_b128 v[94:97], v76, s[0:1] offset:15808
	ds_load_b128 v[77:80], v234 offset:15808
	ds_store_b128 v234, v[98:101] offset:4992
	s_wait_loadcnt_dscnt 0x1
	v_mul_f64_e32 v[0:1], v[79:80], v[96:97]
	s_delay_alu instid0(VALU_DEP_1) | instskip(SKIP_1) | instid1(VALU_DEP_1)
	v_fma_f64 v[98:99], v[77:78], v[94:95], -v[0:1]
	v_mul_f64_e32 v[0:1], v[77:78], v[96:97]
	v_fma_f64 v[100:101], v[79:80], v[94:95], v[0:1]
	global_load_b128 v[94:97], v76, s[0:1] offset:5824
	ds_load_b128 v[77:80], v234 offset:5824
	ds_store_b128 v234, v[98:101] offset:15808
	s_wait_loadcnt_dscnt 0x1
	v_mul_f64_e32 v[0:1], v[79:80], v[96:97]
	s_delay_alu instid0(VALU_DEP_1) | instskip(SKIP_1) | instid1(VALU_DEP_1)
	v_fma_f64 v[98:99], v[77:78], v[94:95], -v[0:1]
	v_mul_f64_e32 v[0:1], v[77:78], v[96:97]
	v_fma_f64 v[100:101], v[79:80], v[94:95], v[0:1]
	global_load_b128 v[94:97], v76, s[0:1] offset:16640
	ds_load_b128 v[77:80], v234 offset:16640
	ds_store_b128 v234, v[98:101] offset:5824
	s_wait_loadcnt_dscnt 0x1
	v_mul_f64_e32 v[0:1], v[79:80], v[96:97]
	s_delay_alu instid0(VALU_DEP_1) | instskip(SKIP_1) | instid1(VALU_DEP_1)
	v_fma_f64 v[98:99], v[77:78], v[94:95], -v[0:1]
	v_mul_f64_e32 v[0:1], v[77:78], v[96:97]
	v_fma_f64 v[100:101], v[79:80], v[94:95], v[0:1]
	global_load_b128 v[94:97], v76, s[0:1] offset:6656
	ds_load_b128 v[77:80], v234 offset:6656
	ds_store_b128 v234, v[98:101] offset:16640
	s_wait_loadcnt_dscnt 0x1
	v_mul_f64_e32 v[0:1], v[79:80], v[96:97]
	s_delay_alu instid0(VALU_DEP_1) | instskip(SKIP_1) | instid1(VALU_DEP_1)
	v_fma_f64 v[98:99], v[77:78], v[94:95], -v[0:1]
	v_mul_f64_e32 v[0:1], v[77:78], v[96:97]
	v_fma_f64 v[100:101], v[79:80], v[94:95], v[0:1]
	global_load_b128 v[94:97], v76, s[0:1] offset:17472
	ds_load_b128 v[77:80], v234 offset:17472
	ds_store_b128 v234, v[98:101] offset:6656
	s_wait_loadcnt_dscnt 0x1
	v_mul_f64_e32 v[0:1], v[79:80], v[96:97]
	s_delay_alu instid0(VALU_DEP_1) | instskip(SKIP_1) | instid1(VALU_DEP_1)
	v_fma_f64 v[98:99], v[77:78], v[94:95], -v[0:1]
	v_mul_f64_e32 v[0:1], v[77:78], v[96:97]
	v_fma_f64 v[100:101], v[79:80], v[94:95], v[0:1]
	global_load_b128 v[94:97], v76, s[0:1] offset:7488
	ds_load_b128 v[77:80], v234 offset:7488
	ds_store_b128 v234, v[98:101] offset:17472
	s_wait_loadcnt_dscnt 0x1
	v_mul_f64_e32 v[0:1], v[79:80], v[96:97]
	s_delay_alu instid0(VALU_DEP_1) | instskip(SKIP_1) | instid1(VALU_DEP_1)
	v_fma_f64 v[98:99], v[77:78], v[94:95], -v[0:1]
	v_mul_f64_e32 v[0:1], v[77:78], v[96:97]
	v_fma_f64 v[100:101], v[79:80], v[94:95], v[0:1]
	global_load_b128 v[94:97], v76, s[0:1] offset:18304
	ds_load_b128 v[77:80], v234 offset:18304
	ds_store_b128 v234, v[98:101] offset:7488
	s_wait_loadcnt_dscnt 0x1
	v_mul_f64_e32 v[0:1], v[79:80], v[96:97]
	s_delay_alu instid0(VALU_DEP_1) | instskip(SKIP_1) | instid1(VALU_DEP_1)
	v_fma_f64 v[98:99], v[77:78], v[94:95], -v[0:1]
	v_mul_f64_e32 v[0:1], v[77:78], v[96:97]
	v_fma_f64 v[100:101], v[79:80], v[94:95], v[0:1]
	global_load_b128 v[94:97], v76, s[0:1] offset:8320
	ds_load_b128 v[77:80], v234 offset:8320
	ds_store_b128 v234, v[98:101] offset:18304
	s_wait_loadcnt_dscnt 0x1
	v_mul_f64_e32 v[0:1], v[79:80], v[96:97]
	s_delay_alu instid0(VALU_DEP_1) | instskip(SKIP_1) | instid1(VALU_DEP_1)
	v_fma_f64 v[98:99], v[77:78], v[94:95], -v[0:1]
	v_mul_f64_e32 v[0:1], v[77:78], v[96:97]
	v_fma_f64 v[100:101], v[79:80], v[94:95], v[0:1]
	global_load_b128 v[94:97], v76, s[0:1] offset:19136
	ds_load_b128 v[77:80], v234 offset:19136
	ds_store_b128 v234, v[98:101] offset:8320
	s_wait_loadcnt_dscnt 0x1
	v_mul_f64_e32 v[0:1], v[79:80], v[96:97]
	s_delay_alu instid0(VALU_DEP_1) | instskip(SKIP_1) | instid1(VALU_DEP_1)
	v_fma_f64 v[98:99], v[77:78], v[94:95], -v[0:1]
	v_mul_f64_e32 v[0:1], v[77:78], v[96:97]
	v_fma_f64 v[100:101], v[79:80], v[94:95], v[0:1]
	global_load_b128 v[94:97], v76, s[0:1] offset:9152
	ds_load_b128 v[77:80], v234 offset:9152
	ds_store_b128 v234, v[98:101] offset:19136
	s_wait_loadcnt_dscnt 0x1
	v_mul_f64_e32 v[0:1], v[79:80], v[96:97]
	s_delay_alu instid0(VALU_DEP_1) | instskip(SKIP_1) | instid1(VALU_DEP_1)
	v_fma_f64 v[98:99], v[77:78], v[94:95], -v[0:1]
	v_mul_f64_e32 v[0:1], v[77:78], v[96:97]
	v_fma_f64 v[100:101], v[79:80], v[94:95], v[0:1]
	global_load_b128 v[94:97], v76, s[0:1] offset:19968
	ds_load_b128 v[77:80], v234 offset:19968
	ds_store_b128 v234, v[98:101] offset:9152
	s_wait_loadcnt_dscnt 0x1
	v_mul_f64_e32 v[0:1], v[79:80], v[96:97]
	s_delay_alu instid0(VALU_DEP_1) | instskip(SKIP_1) | instid1(VALU_DEP_1)
	v_fma_f64 v[98:99], v[77:78], v[94:95], -v[0:1]
	v_mul_f64_e32 v[0:1], v[77:78], v[96:97]
	v_fma_f64 v[100:101], v[79:80], v[94:95], v[0:1]
	global_load_b128 v[94:97], v76, s[0:1] offset:9984
	ds_load_b128 v[77:80], v234 offset:9984
	ds_store_b128 v234, v[98:101] offset:19968
	s_wait_loadcnt_dscnt 0x1
	v_mul_f64_e32 v[0:1], v[79:80], v[96:97]
	s_delay_alu instid0(VALU_DEP_1) | instskip(SKIP_1) | instid1(VALU_DEP_1)
	v_fma_f64 v[98:99], v[77:78], v[94:95], -v[0:1]
	v_mul_f64_e32 v[0:1], v[77:78], v[96:97]
	v_fma_f64 v[100:101], v[79:80], v[94:95], v[0:1]
	global_load_b128 v[94:97], v76, s[0:1] offset:20800
	ds_load_b128 v[77:80], v234 offset:20800
	s_mov_b32 s1, 0x3fefc445
	s_mov_b32 s0, s8
	ds_store_b128 v234, v[98:101] offset:9984
	s_wait_loadcnt_dscnt 0x1
	v_mul_f64_e32 v[0:1], v[79:80], v[96:97]
	s_delay_alu instid0(VALU_DEP_1) | instskip(SKIP_1) | instid1(VALU_DEP_1)
	v_fma_f64 v[98:99], v[77:78], v[94:95], -v[0:1]
	v_mul_f64_e32 v[0:1], v[77:78], v[96:97]
	v_fma_f64 v[100:101], v[79:80], v[94:95], v[0:1]
	ds_store_b128 v234, v[98:101] offset:20800
	global_wb scope:SCOPE_SE
	s_wait_storecnt_dscnt 0x0
	s_barrier_signal -1
	s_barrier_wait -1
	global_inv scope:SCOPE_SE
	ds_load_b128 v[76:79], v234
	ds_load_b128 v[80:83], v234 offset:10816
	ds_load_b128 v[94:97], v234 offset:832
	;; [unrolled: 1-line block ×25, first 2 shown]
	s_wait_dscnt 0x18
	v_add_f64_e64 v[80:81], v[76:77], -v[80:81]
	v_add_f64_e64 v[82:83], v[78:79], -v[82:83]
	s_wait_dscnt 0x16
	v_add_f64_e64 v[98:99], v[94:95], -v[98:99]
	v_add_f64_e64 v[100:101], v[96:97], -v[100:101]
	;; [unrolled: 3-line block ×13, first 2 shown]
	global_wb scope:SCOPE_SE
	s_barrier_signal -1
	s_barrier_wait -1
	global_inv scope:SCOPE_SE
	v_fma_f64 v[76:77], v[76:77], 2.0, -v[80:81]
	v_fma_f64 v[78:79], v[78:79], 2.0, -v[82:83]
	;; [unrolled: 1-line block ×26, first 2 shown]
	ds_store_b128 v251, v[76:79]
	ds_store_b128 v251, v[80:83] offset:16
	ds_store_b128 v250, v[94:97]
	ds_store_b128 v250, v[98:101] offset:16
	;; [unrolled: 2-line block ×13, first 2 shown]
	global_wb scope:SCOPE_SE
	s_wait_dscnt 0x0
	s_barrier_signal -1
	s_barrier_wait -1
	global_inv scope:SCOPE_SE
	ds_load_b128 v[76:79], v234
	ds_load_b128 v[88:91], v234 offset:1664
	ds_load_b128 v[92:95], v234 offset:3328
	;; [unrolled: 1-line block ×25, first 2 shown]
	s_wait_dscnt 0x18
	v_mul_f64_e32 v[160:161], v[134:135], v[90:91]
	global_wb scope:SCOPE_SE
	s_wait_dscnt 0x0
	s_barrier_signal -1
	s_barrier_wait -1
	global_inv scope:SCOPE_SE
	v_fma_f64 v[232:233], v[132:133], v[88:89], v[160:161]
	v_mul_f64_e32 v[88:89], v[134:135], v[88:89]
	s_delay_alu instid0(VALU_DEP_1) | instskip(SKIP_2) | instid1(VALU_DEP_2)
	v_fma_f64 v[254:255], v[132:133], v[90:91], -v[88:89]
	v_mul_f64_e32 v[88:89], v[114:115], v[94:95]
	v_mul_f64_e32 v[90:91], v[122:123], v[168:169]
	v_fma_f64 v[204:205], v[112:113], v[92:93], v[88:89]
	v_mul_f64_e32 v[88:89], v[114:115], v[92:93]
	v_mul_f64_e32 v[92:93], v[118:119], v[172:173]
	s_delay_alu instid0(VALU_DEP_4) | instskip(SKIP_1) | instid1(VALU_DEP_4)
	v_fma_f64 v[162:163], v[120:121], v[166:167], v[90:91]
	v_mul_f64_e32 v[90:91], v[122:123], v[166:167]
	v_fma_f64 v[198:199], v[112:113], v[94:95], -v[88:89]
	s_delay_alu instid0(VALU_DEP_4) | instskip(SKIP_4) | instid1(VALU_DEP_4)
	v_fma_f64 v[180:181], v[116:117], v[170:171], v[92:93]
	v_mul_f64_e32 v[92:93], v[118:119], v[170:171]
	v_mul_f64_e32 v[88:89], v[110:111], v[98:99]
	v_fma_f64 v[90:91], v[120:121], v[168:169], -v[90:91]
	v_mul_f64_e32 v[94:95], v[126:127], v[250:251]
	v_fma_f64 v[166:167], v[116:117], v[172:173], -v[92:93]
	v_mul_f64_e32 v[92:93], v[150:151], v[176:177]
	v_fma_f64 v[194:195], v[108:109], v[96:97], v[88:89]
	v_mul_f64_e32 v[88:89], v[110:111], v[96:97]
	v_mul_f64_e32 v[96:97], v[122:123], v[2:3]
	v_fma_f64 v[94:95], v[124:125], v[252:253], -v[94:95]
	v_fma_f64 v[188:189], v[148:149], v[174:175], v[92:93]
	v_mul_f64_e32 v[92:93], v[150:151], v[174:175]
	v_fma_f64 v[190:191], v[108:109], v[98:99], -v[88:89]
	v_mul_f64_e32 v[88:89], v[106:107], v[102:103]
	v_fma_f64 v[96:97], v[120:121], v[0:1], v[96:97]
	v_mul_f64_e32 v[0:1], v[122:123], v[0:1]
	v_fma_f64 v[184:185], v[148:149], v[176:177], -v[92:93]
	v_mul_f64_e32 v[92:93], v[142:143], v[202:203]
	v_fma_f64 v[186:187], v[104:105], v[100:101], v[88:89]
	v_mul_f64_e32 v[88:89], v[106:107], v[100:101]
	v_fma_f64 v[98:99], v[120:121], v[2:3], -v[0:1]
	v_mul_f64_e32 v[0:1], v[118:119], v[6:7]
	v_add_f64_e32 v[2:3], v[78:79], v[254:255]
	v_fma_f64 v[196:197], v[140:141], v[200:201], v[92:93]
	v_mul_f64_e32 v[92:93], v[142:143], v[200:201]
	v_fma_f64 v[182:183], v[104:105], v[102:103], -v[88:89]
	v_mul_f64_e32 v[88:89], v[146:147], v[154:155]
	v_add_f64_e32 v[2:3], v[2:3], v[198:199]
	s_delay_alu instid0(VALU_DEP_4) | instskip(SKIP_1) | instid1(VALU_DEP_4)
	v_fma_f64 v[192:193], v[140:141], v[202:203], -v[92:93]
	v_mul_f64_e32 v[92:93], v[138:139], v[212:213]
	v_fma_f64 v[178:179], v[144:145], v[152:153], v[88:89]
	v_mul_f64_e32 v[88:89], v[146:147], v[152:153]
	v_fma_f64 v[152:153], v[116:117], v[4:5], v[0:1]
	v_mul_f64_e32 v[0:1], v[118:119], v[4:5]
	v_add_f64_e32 v[2:3], v[2:3], v[190:191]
	v_fma_f64 v[208:209], v[136:137], v[210:211], v[92:93]
	v_mul_f64_e32 v[92:93], v[138:139], v[210:211]
	v_fma_f64 v[164:165], v[144:145], v[154:155], -v[88:89]
	v_mul_f64_e32 v[88:89], v[126:127], v[158:159]
	v_fma_f64 v[154:155], v[116:117], v[6:7], -v[0:1]
	v_mul_f64_e32 v[0:1], v[150:151], v[10:11]
	v_add_f64_e32 v[2:3], v[2:3], v[182:183]
	v_fma_f64 v[206:207], v[136:137], v[212:213], -v[92:93]
	v_mul_f64_e32 v[92:93], v[130:131], v[216:217]
	v_fma_f64 v[160:161], v[124:125], v[156:157], v[88:89]
	v_mul_f64_e32 v[88:89], v[126:127], v[156:157]
	v_fma_f64 v[200:201], v[148:149], v[8:9], v[0:1]
	v_mul_f64_e32 v[0:1], v[150:151], v[8:9]
	v_add_f64_e32 v[2:3], v[2:3], v[164:165]
	v_fma_f64 v[210:211], v[128:129], v[214:215], v[92:93]
	v_mul_f64_e32 v[92:93], v[130:131], v[214:215]
	v_fma_f64 v[88:89], v[124:125], v[158:159], -v[88:89]
	v_fma_f64 v[148:149], v[148:149], v[10:11], -v[0:1]
	v_mul_f64_e32 v[0:1], v[142:143], v[14:15]
	s_delay_alu instid0(VALU_DEP_4) | instskip(SKIP_2) | instid1(VALU_DEP_4)
	v_fma_f64 v[212:213], v[128:129], v[216:217], -v[92:93]
	v_mul_f64_e32 v[92:93], v[134:135], v[220:221]
	v_add_f64_e32 v[2:3], v[2:3], v[88:89]
	v_fma_f64 v[150:151], v[140:141], v[12:13], v[0:1]
	v_mul_f64_e32 v[0:1], v[142:143], v[12:13]
	s_delay_alu instid0(VALU_DEP_4) | instskip(SKIP_2) | instid1(VALU_DEP_2)
	v_fma_f64 v[168:169], v[132:133], v[218:219], v[92:93]
	v_mul_f64_e32 v[92:93], v[134:135], v[218:219]
	v_add_f64_e32 v[2:3], v[2:3], v[90:91]
	v_fma_f64 v[170:171], v[132:133], v[220:221], -v[92:93]
	v_mul_f64_e32 v[92:93], v[114:115], v[224:225]
	s_delay_alu instid0(VALU_DEP_3) | instskip(NEXT) | instid1(VALU_DEP_2)
	v_add_f64_e32 v[2:3], v[2:3], v[166:167]
	v_fma_f64 v[230:231], v[112:113], v[222:223], v[92:93]
	v_mul_f64_e32 v[92:93], v[114:115], v[222:223]
	s_delay_alu instid0(VALU_DEP_3) | instskip(NEXT) | instid1(VALU_DEP_2)
	v_add_f64_e32 v[2:3], v[2:3], v[184:185]
	v_fma_f64 v[240:241], v[112:113], v[224:225], -v[92:93]
	v_mul_f64_e32 v[92:93], v[110:111], v[228:229]
	s_delay_alu instid0(VALU_DEP_3) | instskip(NEXT) | instid1(VALU_DEP_2)
	v_add_f64_e32 v[2:3], v[2:3], v[192:193]
	v_fma_f64 v[202:203], v[108:109], v[226:227], v[92:93]
	v_mul_f64_e32 v[92:93], v[110:111], v[226:227]
	s_delay_alu instid0(VALU_DEP_3) | instskip(NEXT) | instid1(VALU_DEP_2)
	v_add_f64_e32 v[2:3], v[2:3], v[206:207]
	v_fma_f64 v[228:229], v[108:109], v[228:229], -v[92:93]
	v_mul_f64_e32 v[92:93], v[106:107], v[244:245]
	v_add_f64_e32 v[108:109], v[232:233], v[210:211]
	s_delay_alu instid0(VALU_DEP_2)
	v_fma_f64 v[156:157], v[104:105], v[242:243], v[92:93]
	v_mul_f64_e32 v[92:93], v[106:107], v[242:243]
	v_fma_f64 v[242:243], v[140:141], v[14:15], -v[0:1]
	v_mul_f64_e32 v[0:1], v[138:139], v[18:19]
	v_add_f64_e32 v[106:107], v[2:3], v[212:213]
	v_add_f64_e64 v[2:3], v[254:255], -v[212:213]
	v_fma_f64 v[158:159], v[104:105], v[244:245], -v[92:93]
	v_mul_f64_e32 v[92:93], v[146:147], v[248:249]
	v_fma_f64 v[172:173], v[136:137], v[16:17], v[0:1]
	v_mul_f64_e32 v[0:1], v[138:139], v[16:17]
	v_mul_f64_e32 v[4:5], s[26:27], v[2:3]
	s_wait_alu 0xfffe
	v_mul_f64_e32 v[12:13], s[8:9], v[2:3]
	v_mul_f64_e32 v[118:119], s[18:19], v[2:3]
	v_fma_f64 v[100:101], v[144:145], v[246:247], v[92:93]
	v_mul_f64_e32 v[92:93], v[146:147], v[246:247]
	v_fma_f64 v[174:175], v[136:137], v[18:19], -v[0:1]
	v_mul_f64_e32 v[0:1], v[130:131], v[82:83]
	v_fma_f64 v[6:7], v[108:109], s[20:21], v[4:5]
	v_fma_f64 v[4:5], v[108:109], s[20:21], -v[4:5]
	v_fma_f64 v[14:15], v[108:109], s[2:3], v[12:13]
	v_fma_f64 v[12:13], v[108:109], s[2:3], -v[12:13]
	;; [unrolled: 2-line block ×3, first 2 shown]
	v_fma_f64 v[102:103], v[144:145], v[248:249], -v[92:93]
	v_mul_f64_e32 v[92:93], v[126:127], v[252:253]
	v_fma_f64 v[176:177], v[128:129], v[80:81], v[0:1]
	v_mul_f64_e32 v[0:1], v[130:131], v[80:81]
	v_add_f64_e32 v[116:117], v[76:77], v[6:7]
	v_add_f64_e32 v[112:113], v[76:77], v[4:5]
	v_mul_f64_e32 v[126:127], s[30:31], v[2:3]
	v_add_f64_e32 v[14:15], v[76:77], v[14:15]
	v_add_f64_e32 v[12:13], v[76:77], v[12:13]
	;; [unrolled: 1-line block ×4, first 2 shown]
	v_fma_f64 v[92:93], v[124:125], v[250:251], v[92:93]
	v_fma_f64 v[80:81], v[128:129], v[82:83], -v[0:1]
	v_add_f64_e32 v[0:1], v[76:77], v[232:233]
	v_add_f64_e64 v[82:83], v[232:233], -v[210:211]
	v_fma_f64 v[128:129], v[108:109], s[34:35], v[126:127]
	v_fma_f64 v[126:127], v[108:109], s[34:35], -v[126:127]
	s_delay_alu instid0(VALU_DEP_4) | instskip(NEXT) | instid1(VALU_DEP_3)
	v_add_f64_e32 v[0:1], v[0:1], v[204:205]
	v_add_f64_e32 v[128:129], v[76:77], v[128:129]
	s_delay_alu instid0(VALU_DEP_3) | instskip(NEXT) | instid1(VALU_DEP_3)
	v_add_f64_e32 v[126:127], v[76:77], v[126:127]
	v_add_f64_e32 v[0:1], v[0:1], v[194:195]
	s_delay_alu instid0(VALU_DEP_1) | instskip(NEXT) | instid1(VALU_DEP_1)
	v_add_f64_e32 v[0:1], v[0:1], v[186:187]
	v_add_f64_e32 v[0:1], v[0:1], v[178:179]
	s_delay_alu instid0(VALU_DEP_1) | instskip(NEXT) | instid1(VALU_DEP_1)
	;; [unrolled: 3-line block ×4, first 2 shown]
	v_add_f64_e32 v[0:1], v[0:1], v[196:197]
	v_add_f64_e32 v[0:1], v[0:1], v[208:209]
	s_delay_alu instid0(VALU_DEP_1) | instskip(SKIP_1) | instid1(VALU_DEP_1)
	v_add_f64_e32 v[104:105], v[0:1], v[210:211]
	v_add_f64_e32 v[0:1], v[254:255], v[212:213]
	v_mul_f64_e32 v[6:7], s[20:21], v[0:1]
	v_mul_f64_e32 v[16:17], s[2:3], v[0:1]
	;; [unrolled: 1-line block ×4, first 2 shown]
	s_delay_alu instid0(VALU_DEP_4)
	v_fma_f64 v[4:5], v[82:83], s[26:27], v[6:7]
	v_fma_f64 v[8:9], v[82:83], s[22:23], v[6:7]
	v_fma_f64 v[18:19], v[82:83], s[0:1], v[16:17]
	v_fma_f64 v[16:17], v[82:83], s[8:9], v[16:17]
	v_fma_f64 v[124:125], v[82:83], s[28:29], v[122:123]
	v_fma_f64 v[122:123], v[82:83], s[18:19], v[122:123]
	v_fma_f64 v[132:133], v[82:83], s[36:37], v[130:131]
	v_fma_f64 v[130:131], v[82:83], s[30:31], v[130:131]
	v_add_f64_e32 v[114:115], v[78:79], v[4:5]
	v_mul_f64_e32 v[4:5], s[10:11], v[2:3]
	v_mul_f64_e32 v[2:3], s[38:39], v[2:3]
	v_add_f64_e32 v[110:111], v[78:79], v[8:9]
	v_mul_f64_e32 v[8:9], s[14:15], v[0:1]
	v_mul_f64_e32 v[0:1], s[40:41], v[0:1]
	v_add_f64_e32 v[18:19], v[78:79], v[18:19]
	v_add_f64_e32 v[16:17], v[78:79], v[16:17]
	;; [unrolled: 1-line block ×6, first 2 shown]
	v_fma_f64 v[6:7], v[108:109], s[14:15], v[4:5]
	v_fma_f64 v[4:5], v[108:109], s[14:15], -v[4:5]
	v_fma_f64 v[134:135], v[108:109], s[40:41], v[2:3]
	v_fma_f64 v[2:3], v[108:109], s[40:41], -v[2:3]
	v_add_f64_e64 v[108:109], v[198:199], -v[206:207]
	v_fma_f64 v[10:11], v[82:83], s[16:17], v[8:9]
	v_fma_f64 v[8:9], v[82:83], s[10:11], v[8:9]
	v_fma_f64 v[136:137], v[82:83], s[42:43], v[0:1]
	v_fma_f64 v[0:1], v[82:83], s[38:39], v[0:1]
	v_add_f64_e64 v[82:83], v[204:205], -v[208:209]
	v_add_f64_e32 v[6:7], v[76:77], v[6:7]
	v_add_f64_e32 v[4:5], v[76:77], v[4:5]
	;; [unrolled: 1-line block ×5, first 2 shown]
	v_mul_f64_e32 v[138:139], s[10:11], v[108:109]
	v_add_f64_e32 v[10:11], v[78:79], v[10:11]
	v_add_f64_e32 v[8:9], v[78:79], v[8:9]
	;; [unrolled: 1-line block ×5, first 2 shown]
	v_fma_f64 v[140:141], v[76:77], s[14:15], v[138:139]
	v_fma_f64 v[138:139], v[76:77], s[14:15], -v[138:139]
	s_delay_alu instid0(VALU_DEP_2) | instskip(NEXT) | instid1(VALU_DEP_4)
	v_add_f64_e32 v[116:117], v[140:141], v[116:117]
	v_mul_f64_e32 v[140:141], s[14:15], v[78:79]
	s_delay_alu instid0(VALU_DEP_3) | instskip(NEXT) | instid1(VALU_DEP_2)
	v_add_f64_e32 v[112:113], v[138:139], v[112:113]
	v_fma_f64 v[138:139], v[82:83], s[10:11], v[140:141]
	v_fma_f64 v[142:143], v[82:83], s[16:17], v[140:141]
	s_delay_alu instid0(VALU_DEP_2) | instskip(SKIP_1) | instid1(VALU_DEP_3)
	v_add_f64_e32 v[114:115], v[138:139], v[114:115]
	v_mul_f64_e32 v[138:139], s[18:19], v[108:109]
	v_add_f64_e32 v[110:111], v[142:143], v[110:111]
	s_delay_alu instid0(VALU_DEP_2) | instskip(SKIP_1) | instid1(VALU_DEP_2)
	v_fma_f64 v[140:141], v[76:77], s[24:25], v[138:139]
	v_fma_f64 v[138:139], v[76:77], s[24:25], -v[138:139]
	v_add_f64_e32 v[6:7], v[140:141], v[6:7]
	v_mul_f64_e32 v[140:141], s[24:25], v[78:79]
	s_delay_alu instid0(VALU_DEP_3) | instskip(NEXT) | instid1(VALU_DEP_2)
	v_add_f64_e32 v[4:5], v[138:139], v[4:5]
	v_fma_f64 v[138:139], v[82:83], s[18:19], v[140:141]
	v_fma_f64 v[142:143], v[82:83], s[28:29], v[140:141]
	s_delay_alu instid0(VALU_DEP_2) | instskip(SKIP_1) | instid1(VALU_DEP_3)
	v_add_f64_e32 v[8:9], v[138:139], v[8:9]
	v_mul_f64_e32 v[138:139], s[38:39], v[108:109]
	v_add_f64_e32 v[10:11], v[142:143], v[10:11]
	s_delay_alu instid0(VALU_DEP_2) | instskip(SKIP_1) | instid1(VALU_DEP_2)
	v_fma_f64 v[140:141], v[76:77], s[40:41], v[138:139]
	v_fma_f64 v[138:139], v[76:77], s[40:41], -v[138:139]
	;; [unrolled: 13-line block ×3, first 2 shown]
	v_add_f64_e32 v[120:121], v[140:141], v[120:121]
	v_mul_f64_e32 v[140:141], s[34:35], v[78:79]
	s_delay_alu instid0(VALU_DEP_3) | instskip(NEXT) | instid1(VALU_DEP_2)
	v_add_f64_e32 v[118:119], v[138:139], v[118:119]
	v_fma_f64 v[138:139], v[82:83], s[36:37], v[140:141]
	v_fma_f64 v[142:143], v[82:83], s[30:31], v[140:141]
	s_delay_alu instid0(VALU_DEP_2) | instskip(SKIP_2) | instid1(VALU_DEP_4)
	v_add_f64_e32 v[122:123], v[138:139], v[122:123]
	v_mul_f64_e32 v[138:139], s[0:1], v[108:109]
	v_mul_f64_e32 v[108:109], s[22:23], v[108:109]
	v_add_f64_e32 v[124:125], v[142:143], v[124:125]
	s_delay_alu instid0(VALU_DEP_3) | instskip(SKIP_1) | instid1(VALU_DEP_2)
	v_fma_f64 v[140:141], v[76:77], s[2:3], v[138:139]
	v_fma_f64 v[138:139], v[76:77], s[2:3], -v[138:139]
	v_add_f64_e32 v[128:129], v[140:141], v[128:129]
	v_mul_f64_e32 v[140:141], s[2:3], v[78:79]
	s_delay_alu instid0(VALU_DEP_3) | instskip(SKIP_1) | instid1(VALU_DEP_3)
	v_add_f64_e32 v[126:127], v[138:139], v[126:127]
	v_mul_f64_e32 v[78:79], s[20:21], v[78:79]
	v_fma_f64 v[138:139], v[82:83], s[0:1], v[140:141]
	v_fma_f64 v[142:143], v[82:83], s[8:9], v[140:141]
	s_delay_alu instid0(VALU_DEP_2) | instskip(SKIP_4) | instid1(VALU_DEP_4)
	v_add_f64_e32 v[130:131], v[138:139], v[130:131]
	v_fma_f64 v[138:139], v[76:77], s[20:21], v[108:109]
	v_fma_f64 v[76:77], v[76:77], s[20:21], -v[108:109]
	v_add_f64_e64 v[108:109], v[190:191], -v[192:193]
	v_add_f64_e32 v[132:133], v[142:143], v[132:133]
	v_add_f64_e32 v[134:135], v[138:139], v[134:135]
	v_fma_f64 v[138:139], v[82:83], s[26:27], v[78:79]
	v_add_f64_e32 v[2:3], v[76:77], v[2:3]
	v_fma_f64 v[76:77], v[82:83], s[22:23], v[78:79]
	v_add_f64_e32 v[78:79], v[190:191], v[192:193]
	v_add_f64_e64 v[82:83], v[194:195], -v[196:197]
	v_add_f64_e32 v[136:137], v[138:139], v[136:137]
	v_mul_f64_e32 v[138:139], s[8:9], v[108:109]
	v_add_f64_e32 v[0:1], v[76:77], v[0:1]
	v_add_f64_e32 v[76:77], v[194:195], v[196:197]
	s_delay_alu instid0(VALU_DEP_1) | instskip(SKIP_1) | instid1(VALU_DEP_2)
	v_fma_f64 v[140:141], v[76:77], s[2:3], v[138:139]
	v_fma_f64 v[138:139], v[76:77], s[2:3], -v[138:139]
	v_add_f64_e32 v[116:117], v[140:141], v[116:117]
	v_mul_f64_e32 v[140:141], s[2:3], v[78:79]
	s_delay_alu instid0(VALU_DEP_3) | instskip(NEXT) | instid1(VALU_DEP_2)
	v_add_f64_e32 v[112:113], v[138:139], v[112:113]
	v_fma_f64 v[138:139], v[82:83], s[8:9], v[140:141]
	v_fma_f64 v[142:143], v[82:83], s[0:1], v[140:141]
	s_delay_alu instid0(VALU_DEP_2) | instskip(SKIP_1) | instid1(VALU_DEP_3)
	v_add_f64_e32 v[114:115], v[138:139], v[114:115]
	v_mul_f64_e32 v[138:139], s[38:39], v[108:109]
	v_add_f64_e32 v[110:111], v[142:143], v[110:111]
	s_delay_alu instid0(VALU_DEP_2) | instskip(SKIP_1) | instid1(VALU_DEP_2)
	v_fma_f64 v[140:141], v[76:77], s[40:41], v[138:139]
	v_fma_f64 v[138:139], v[76:77], s[40:41], -v[138:139]
	v_add_f64_e32 v[6:7], v[140:141], v[6:7]
	v_mul_f64_e32 v[140:141], s[40:41], v[78:79]
	s_delay_alu instid0(VALU_DEP_3) | instskip(NEXT) | instid1(VALU_DEP_2)
	v_add_f64_e32 v[4:5], v[138:139], v[4:5]
	v_fma_f64 v[138:139], v[82:83], s[38:39], v[140:141]
	v_fma_f64 v[142:143], v[82:83], s[42:43], v[140:141]
	s_delay_alu instid0(VALU_DEP_2) | instskip(SKIP_1) | instid1(VALU_DEP_3)
	v_add_f64_e32 v[8:9], v[138:139], v[8:9]
	v_mul_f64_e32 v[138:139], s[28:29], v[108:109]
	v_add_f64_e32 v[10:11], v[142:143], v[10:11]
	s_delay_alu instid0(VALU_DEP_2) | instskip(SKIP_1) | instid1(VALU_DEP_2)
	;; [unrolled: 13-line block ×3, first 2 shown]
	v_fma_f64 v[140:141], v[76:77], s[20:21], v[138:139]
	v_fma_f64 v[138:139], v[76:77], s[20:21], -v[138:139]
	v_add_f64_e32 v[120:121], v[140:141], v[120:121]
	v_mul_f64_e32 v[140:141], s[20:21], v[78:79]
	s_delay_alu instid0(VALU_DEP_3) | instskip(NEXT) | instid1(VALU_DEP_2)
	v_add_f64_e32 v[118:119], v[138:139], v[118:119]
	v_fma_f64 v[138:139], v[82:83], s[22:23], v[140:141]
	v_fma_f64 v[142:143], v[82:83], s[26:27], v[140:141]
	s_delay_alu instid0(VALU_DEP_2) | instskip(SKIP_2) | instid1(VALU_DEP_4)
	v_add_f64_e32 v[122:123], v[138:139], v[122:123]
	v_mul_f64_e32 v[138:139], s[10:11], v[108:109]
	v_mul_f64_e32 v[108:109], s[30:31], v[108:109]
	v_add_f64_e32 v[124:125], v[142:143], v[124:125]
	s_delay_alu instid0(VALU_DEP_3) | instskip(SKIP_1) | instid1(VALU_DEP_2)
	v_fma_f64 v[140:141], v[76:77], s[14:15], v[138:139]
	v_fma_f64 v[138:139], v[76:77], s[14:15], -v[138:139]
	v_add_f64_e32 v[128:129], v[140:141], v[128:129]
	v_mul_f64_e32 v[140:141], s[14:15], v[78:79]
	s_delay_alu instid0(VALU_DEP_3) | instskip(SKIP_1) | instid1(VALU_DEP_3)
	v_add_f64_e32 v[126:127], v[138:139], v[126:127]
	v_mul_f64_e32 v[78:79], s[34:35], v[78:79]
	v_fma_f64 v[138:139], v[82:83], s[10:11], v[140:141]
	v_fma_f64 v[142:143], v[82:83], s[16:17], v[140:141]
	s_delay_alu instid0(VALU_DEP_2) | instskip(SKIP_4) | instid1(VALU_DEP_4)
	v_add_f64_e32 v[130:131], v[138:139], v[130:131]
	v_fma_f64 v[138:139], v[76:77], s[34:35], v[108:109]
	v_fma_f64 v[76:77], v[76:77], s[34:35], -v[108:109]
	v_add_f64_e64 v[108:109], v[182:183], -v[184:185]
	v_add_f64_e32 v[132:133], v[142:143], v[132:133]
	v_add_f64_e32 v[134:135], v[138:139], v[134:135]
	v_fma_f64 v[138:139], v[82:83], s[36:37], v[78:79]
	v_add_f64_e32 v[2:3], v[76:77], v[2:3]
	v_fma_f64 v[76:77], v[82:83], s[30:31], v[78:79]
	v_add_f64_e32 v[78:79], v[182:183], v[184:185]
	v_add_f64_e64 v[82:83], v[186:187], -v[188:189]
	v_add_f64_e32 v[136:137], v[138:139], v[136:137]
	v_mul_f64_e32 v[138:139], s[18:19], v[108:109]
	v_add_f64_e32 v[0:1], v[76:77], v[0:1]
	v_add_f64_e32 v[76:77], v[186:187], v[188:189]
	s_delay_alu instid0(VALU_DEP_1) | instskip(SKIP_1) | instid1(VALU_DEP_2)
	v_fma_f64 v[140:141], v[76:77], s[24:25], v[138:139]
	v_fma_f64 v[138:139], v[76:77], s[24:25], -v[138:139]
	v_add_f64_e32 v[116:117], v[140:141], v[116:117]
	v_mul_f64_e32 v[140:141], s[24:25], v[78:79]
	s_delay_alu instid0(VALU_DEP_3) | instskip(NEXT) | instid1(VALU_DEP_2)
	v_add_f64_e32 v[112:113], v[138:139], v[112:113]
	v_fma_f64 v[138:139], v[82:83], s[18:19], v[140:141]
	v_fma_f64 v[142:143], v[82:83], s[28:29], v[140:141]
	s_delay_alu instid0(VALU_DEP_2) | instskip(SKIP_1) | instid1(VALU_DEP_3)
	v_add_f64_e32 v[114:115], v[138:139], v[114:115]
	v_mul_f64_e32 v[138:139], s[36:37], v[108:109]
	v_add_f64_e32 v[110:111], v[142:143], v[110:111]
	s_delay_alu instid0(VALU_DEP_2) | instskip(SKIP_1) | instid1(VALU_DEP_2)
	v_fma_f64 v[140:141], v[76:77], s[34:35], v[138:139]
	v_fma_f64 v[138:139], v[76:77], s[34:35], -v[138:139]
	v_add_f64_e32 v[6:7], v[140:141], v[6:7]
	v_mul_f64_e32 v[140:141], s[34:35], v[78:79]
	s_delay_alu instid0(VALU_DEP_3) | instskip(NEXT) | instid1(VALU_DEP_2)
	v_add_f64_e32 v[4:5], v[138:139], v[4:5]
	v_fma_f64 v[138:139], v[82:83], s[36:37], v[140:141]
	v_fma_f64 v[142:143], v[82:83], s[30:31], v[140:141]
	s_delay_alu instid0(VALU_DEP_2) | instskip(SKIP_1) | instid1(VALU_DEP_3)
	v_add_f64_e32 v[8:9], v[138:139], v[8:9]
	v_mul_f64_e32 v[138:139], s[22:23], v[108:109]
	v_add_f64_e32 v[10:11], v[142:143], v[10:11]
	s_delay_alu instid0(VALU_DEP_2) | instskip(SKIP_1) | instid1(VALU_DEP_2)
	v_fma_f64 v[140:141], v[76:77], s[20:21], v[138:139]
	v_fma_f64 v[138:139], v[76:77], s[20:21], -v[138:139]
	v_add_f64_e32 v[14:15], v[140:141], v[14:15]
	v_mul_f64_e32 v[140:141], s[20:21], v[78:79]
	s_delay_alu instid0(VALU_DEP_3) | instskip(NEXT) | instid1(VALU_DEP_2)
	v_add_f64_e32 v[12:13], v[138:139], v[12:13]
	v_fma_f64 v[138:139], v[82:83], s[22:23], v[140:141]
	v_fma_f64 v[142:143], v[82:83], s[26:27], v[140:141]
	s_delay_alu instid0(VALU_DEP_2) | instskip(SKIP_1) | instid1(VALU_DEP_3)
	v_add_f64_e32 v[16:17], v[138:139], v[16:17]
	v_mul_f64_e32 v[138:139], s[8:9], v[108:109]
	v_add_f64_e32 v[18:19], v[142:143], v[18:19]
	s_delay_alu instid0(VALU_DEP_2) | instskip(SKIP_1) | instid1(VALU_DEP_2)
	v_fma_f64 v[140:141], v[76:77], s[2:3], v[138:139]
	v_fma_f64 v[138:139], v[76:77], s[2:3], -v[138:139]
	v_add_f64_e32 v[120:121], v[140:141], v[120:121]
	v_mul_f64_e32 v[140:141], s[2:3], v[78:79]
	s_delay_alu instid0(VALU_DEP_3) | instskip(NEXT) | instid1(VALU_DEP_2)
	v_add_f64_e32 v[118:119], v[138:139], v[118:119]
	v_fma_f64 v[138:139], v[82:83], s[8:9], v[140:141]
	v_fma_f64 v[142:143], v[82:83], s[0:1], v[140:141]
	s_delay_alu instid0(VALU_DEP_2) | instskip(SKIP_2) | instid1(VALU_DEP_4)
	v_add_f64_e32 v[122:123], v[138:139], v[122:123]
	v_mul_f64_e32 v[138:139], s[42:43], v[108:109]
	v_mul_f64_e32 v[108:109], s[16:17], v[108:109]
	v_add_f64_e32 v[124:125], v[142:143], v[124:125]
	s_delay_alu instid0(VALU_DEP_3) | instskip(SKIP_1) | instid1(VALU_DEP_2)
	v_fma_f64 v[140:141], v[76:77], s[40:41], v[138:139]
	v_fma_f64 v[138:139], v[76:77], s[40:41], -v[138:139]
	v_add_f64_e32 v[128:129], v[140:141], v[128:129]
	v_mul_f64_e32 v[140:141], s[40:41], v[78:79]
	s_delay_alu instid0(VALU_DEP_3) | instskip(SKIP_1) | instid1(VALU_DEP_3)
	v_add_f64_e32 v[126:127], v[138:139], v[126:127]
	v_mul_f64_e32 v[78:79], s[14:15], v[78:79]
	v_fma_f64 v[138:139], v[82:83], s[42:43], v[140:141]
	v_fma_f64 v[142:143], v[82:83], s[38:39], v[140:141]
	s_delay_alu instid0(VALU_DEP_2) | instskip(SKIP_4) | instid1(VALU_DEP_4)
	v_add_f64_e32 v[130:131], v[138:139], v[130:131]
	v_fma_f64 v[138:139], v[76:77], s[14:15], v[108:109]
	v_fma_f64 v[76:77], v[76:77], s[14:15], -v[108:109]
	v_add_f64_e64 v[108:109], v[164:165], -v[166:167]
	v_add_f64_e32 v[132:133], v[142:143], v[132:133]
	v_add_f64_e32 v[134:135], v[138:139], v[134:135]
	v_fma_f64 v[138:139], v[82:83], s[10:11], v[78:79]
	v_add_f64_e32 v[2:3], v[76:77], v[2:3]
	v_fma_f64 v[76:77], v[82:83], s[16:17], v[78:79]
	v_add_f64_e32 v[78:79], v[164:165], v[166:167]
	v_add_f64_e64 v[82:83], v[178:179], -v[180:181]
	v_add_f64_e32 v[166:167], v[88:89], v[90:91]
	v_add_f64_e32 v[136:137], v[138:139], v[136:137]
	v_mul_f64_e32 v[138:139], s[30:31], v[108:109]
	v_add_f64_e32 v[0:1], v[76:77], v[0:1]
	v_add_f64_e32 v[76:77], v[178:179], v[180:181]
	s_delay_alu instid0(VALU_DEP_1) | instskip(SKIP_1) | instid1(VALU_DEP_2)
	v_fma_f64 v[140:141], v[76:77], s[34:35], v[138:139]
	v_fma_f64 v[138:139], v[76:77], s[34:35], -v[138:139]
	v_add_f64_e32 v[116:117], v[140:141], v[116:117]
	v_mul_f64_e32 v[140:141], s[34:35], v[78:79]
	s_delay_alu instid0(VALU_DEP_3) | instskip(NEXT) | instid1(VALU_DEP_2)
	v_add_f64_e32 v[138:139], v[138:139], v[112:113]
	v_fma_f64 v[112:113], v[82:83], s[30:31], v[140:141]
	v_fma_f64 v[142:143], v[82:83], s[36:37], v[140:141]
	s_delay_alu instid0(VALU_DEP_2) | instskip(SKIP_1) | instid1(VALU_DEP_3)
	v_add_f64_e32 v[140:141], v[112:113], v[114:115]
	v_mul_f64_e32 v[112:113], s[0:1], v[108:109]
	v_add_f64_e32 v[110:111], v[142:143], v[110:111]
	s_delay_alu instid0(VALU_DEP_2) | instskip(SKIP_1) | instid1(VALU_DEP_2)
	v_fma_f64 v[114:115], v[76:77], s[2:3], v[112:113]
	v_fma_f64 v[112:113], v[76:77], s[2:3], -v[112:113]
	v_add_f64_e32 v[6:7], v[114:115], v[6:7]
	v_mul_f64_e32 v[114:115], s[2:3], v[78:79]
	s_delay_alu instid0(VALU_DEP_3) | instskip(NEXT) | instid1(VALU_DEP_2)
	v_add_f64_e32 v[4:5], v[112:113], v[4:5]
	v_fma_f64 v[112:113], v[82:83], s[0:1], v[114:115]
	v_fma_f64 v[142:143], v[82:83], s[8:9], v[114:115]
	s_delay_alu instid0(VALU_DEP_2) | instskip(SKIP_1) | instid1(VALU_DEP_3)
	v_add_f64_e32 v[8:9], v[112:113], v[8:9]
	v_mul_f64_e32 v[112:113], s[10:11], v[108:109]
	v_add_f64_e32 v[10:11], v[142:143], v[10:11]
	s_delay_alu instid0(VALU_DEP_2) | instskip(SKIP_1) | instid1(VALU_DEP_2)
	;; [unrolled: 13-line block ×3, first 2 shown]
	v_fma_f64 v[114:115], v[76:77], s[40:41], v[112:113]
	v_fma_f64 v[112:113], v[76:77], s[40:41], -v[112:113]
	v_add_f64_e32 v[142:143], v[114:115], v[120:121]
	v_mul_f64_e32 v[114:115], s[40:41], v[78:79]
	s_delay_alu instid0(VALU_DEP_3) | instskip(NEXT) | instid1(VALU_DEP_2)
	v_add_f64_e32 v[184:185], v[112:113], v[118:119]
	v_fma_f64 v[112:113], v[82:83], s[42:43], v[114:115]
	v_fma_f64 v[120:121], v[82:83], s[38:39], v[114:115]
	s_delay_alu instid0(VALU_DEP_2) | instskip(SKIP_2) | instid1(VALU_DEP_4)
	v_add_f64_e32 v[186:187], v[112:113], v[122:123]
	v_mul_f64_e32 v[112:113], s[22:23], v[108:109]
	v_mul_f64_e32 v[108:109], s[18:19], v[108:109]
	v_add_f64_e32 v[182:183], v[120:121], v[124:125]
	v_add_f64_e32 v[124:125], v[160:161], v[162:163]
	s_delay_alu instid0(VALU_DEP_4) | instskip(SKIP_1) | instid1(VALU_DEP_2)
	v_fma_f64 v[114:115], v[76:77], s[20:21], v[112:113]
	v_fma_f64 v[112:113], v[76:77], s[20:21], -v[112:113]
	v_add_f64_e32 v[144:145], v[114:115], v[128:129]
	v_mul_f64_e32 v[114:115], s[20:21], v[78:79]
	s_delay_alu instid0(VALU_DEP_3) | instskip(NEXT) | instid1(VALU_DEP_2)
	v_add_f64_e32 v[180:181], v[112:113], v[126:127]
	v_fma_f64 v[112:113], v[82:83], s[22:23], v[114:115]
	v_fma_f64 v[118:119], v[82:83], s[26:27], v[114:115]
	s_delay_alu instid0(VALU_DEP_2) | instskip(SKIP_2) | instid1(VALU_DEP_4)
	v_add_f64_e32 v[178:179], v[112:113], v[130:131]
	v_fma_f64 v[112:113], v[76:77], s[24:25], v[108:109]
	v_fma_f64 v[76:77], v[76:77], s[24:25], -v[108:109]
	v_add_f64_e32 v[146:147], v[118:119], v[132:133]
	s_delay_alu instid0(VALU_DEP_3) | instskip(SKIP_1) | instid1(VALU_DEP_1)
	v_add_f64_e32 v[164:165], v[112:113], v[134:135]
	v_mul_f64_e32 v[112:113], s[24:25], v[78:79]
	v_fma_f64 v[78:79], v[82:83], s[28:29], v[112:113]
	s_delay_alu instid0(VALU_DEP_1) | instskip(SKIP_4) | instid1(VALU_DEP_3)
	v_add_f64_e32 v[126:127], v[78:79], v[136:137]
	v_add_f64_e32 v[78:79], v[76:77], v[2:3]
	v_fma_f64 v[2:3], v[82:83], s[18:19], v[112:113]
	v_add_f64_e64 v[82:83], v[160:161], -v[162:163]
	v_add_f64_e64 v[160:161], v[88:89], -v[90:91]
	v_add_f64_e32 v[76:77], v[2:3], v[0:1]
	s_delay_alu instid0(VALU_DEP_2) | instskip(NEXT) | instid1(VALU_DEP_1)
	v_mul_f64_e32 v[0:1], s[38:39], v[160:161]
	v_fma_f64 v[2:3], v[124:125], s[40:41], v[0:1]
	v_fma_f64 v[0:1], v[124:125], s[40:41], -v[0:1]
	s_delay_alu instid0(VALU_DEP_2) | instskip(SKIP_1) | instid1(VALU_DEP_3)
	v_add_f64_e32 v[112:113], v[2:3], v[116:117]
	v_mul_f64_e32 v[2:3], s[40:41], v[166:167]
	v_add_f64_e32 v[108:109], v[0:1], v[138:139]
	s_delay_alu instid0(VALU_DEP_2) | instskip(SKIP_1) | instid1(VALU_DEP_2)
	v_fma_f64 v[88:89], v[82:83], s[42:43], v[2:3]
	v_fma_f64 v[0:1], v[82:83], s[38:39], v[2:3]
	v_add_f64_e32 v[114:115], v[88:89], v[110:111]
	s_delay_alu instid0(VALU_DEP_2) | instskip(SKIP_1) | instid1(VALU_DEP_1)
	v_add_f64_e32 v[110:111], v[0:1], v[140:141]
	v_mul_f64_e32 v[0:1], s[22:23], v[160:161]
	v_fma_f64 v[2:3], v[124:125], s[20:21], v[0:1]
	v_fma_f64 v[0:1], v[124:125], s[20:21], -v[0:1]
	s_delay_alu instid0(VALU_DEP_2) | instskip(SKIP_1) | instid1(VALU_DEP_3)
	v_add_f64_e32 v[120:121], v[2:3], v[6:7]
	v_mul_f64_e32 v[2:3], s[20:21], v[166:167]
	v_add_f64_e32 v[116:117], v[0:1], v[4:5]
	s_delay_alu instid0(VALU_DEP_2) | instskip(SKIP_1) | instid1(VALU_DEP_2)
	v_fma_f64 v[0:1], v[82:83], s[22:23], v[2:3]
	v_fma_f64 v[6:7], v[82:83], s[26:27], v[2:3]
	v_add_f64_e32 v[118:119], v[0:1], v[8:9]
	v_mul_f64_e32 v[0:1], s[30:31], v[160:161]
	s_delay_alu instid0(VALU_DEP_3) | instskip(SKIP_1) | instid1(VALU_DEP_3)
	v_add_f64_e32 v[122:123], v[6:7], v[10:11]
	v_add_f64_e64 v[6:7], v[170:171], -v[80:81]
	v_fma_f64 v[2:3], v[124:125], s[34:35], v[0:1]
	v_fma_f64 v[0:1], v[124:125], s[34:35], -v[0:1]
	s_delay_alu instid0(VALU_DEP_3) | instskip(NEXT) | instid1(VALU_DEP_3)
	v_mul_f64_e32 v[8:9], s[26:27], v[6:7]
	v_add_f64_e32 v[128:129], v[2:3], v[14:15]
	v_mul_f64_e32 v[2:3], s[34:35], v[166:167]
	s_delay_alu instid0(VALU_DEP_4) | instskip(NEXT) | instid1(VALU_DEP_2)
	v_add_f64_e32 v[132:133], v[0:1], v[12:13]
	v_fma_f64 v[0:1], v[82:83], s[30:31], v[2:3]
	v_fma_f64 v[4:5], v[82:83], s[36:37], v[2:3]
	s_delay_alu instid0(VALU_DEP_2) | instskip(SKIP_1) | instid1(VALU_DEP_3)
	v_add_f64_e32 v[134:135], v[0:1], v[16:17]
	v_mul_f64_e32 v[0:1], s[16:17], v[160:161]
	v_add_f64_e32 v[130:131], v[4:5], v[18:19]
	v_mul_f64_e32 v[16:17], s[10:11], v[6:7]
	s_delay_alu instid0(VALU_DEP_3) | instskip(SKIP_1) | instid1(VALU_DEP_2)
	v_fma_f64 v[2:3], v[124:125], s[14:15], v[0:1]
	v_fma_f64 v[0:1], v[124:125], s[14:15], -v[0:1]
	v_add_f64_e32 v[136:137], v[2:3], v[142:143]
	v_mul_f64_e32 v[2:3], s[14:15], v[166:167]
	s_delay_alu instid0(VALU_DEP_3) | instskip(SKIP_1) | instid1(VALU_DEP_3)
	v_add_f64_e32 v[140:141], v[0:1], v[184:185]
	v_mul_f64_e32 v[184:185], s[30:31], v[6:7]
	v_fma_f64 v[0:1], v[82:83], s[16:17], v[2:3]
	v_fma_f64 v[4:5], v[82:83], s[10:11], v[2:3]
	s_delay_alu instid0(VALU_DEP_2) | instskip(SKIP_1) | instid1(VALU_DEP_3)
	v_add_f64_e32 v[142:143], v[0:1], v[186:187]
	v_mul_f64_e32 v[0:1], s[18:19], v[160:161]
	v_add_f64_e32 v[138:139], v[4:5], v[182:183]
	s_delay_alu instid0(VALU_DEP_2) | instskip(SKIP_1) | instid1(VALU_DEP_2)
	v_fma_f64 v[2:3], v[124:125], s[24:25], v[0:1]
	v_fma_f64 v[0:1], v[124:125], s[24:25], -v[0:1]
	v_add_f64_e32 v[144:145], v[2:3], v[144:145]
	v_mul_f64_e32 v[2:3], s[24:25], v[166:167]
	s_delay_alu instid0(VALU_DEP_3) | instskip(NEXT) | instid1(VALU_DEP_2)
	v_add_f64_e32 v[88:89], v[0:1], v[180:181]
	v_fma_f64 v[0:1], v[82:83], s[18:19], v[2:3]
	v_fma_f64 v[4:5], v[82:83], s[28:29], v[2:3]
	s_delay_alu instid0(VALU_DEP_2) | instskip(SKIP_1) | instid1(VALU_DEP_3)
	v_add_f64_e32 v[90:91], v[0:1], v[178:179]
	v_mul_f64_e32 v[0:1], s[0:1], v[160:161]
	v_add_f64_e32 v[146:147], v[4:5], v[146:147]
	s_delay_alu instid0(VALU_DEP_2) | instskip(SKIP_1) | instid1(VALU_DEP_2)
	v_fma_f64 v[2:3], v[124:125], s[2:3], v[0:1]
	v_fma_f64 v[0:1], v[124:125], s[2:3], -v[0:1]
	v_add_f64_e32 v[160:161], v[2:3], v[164:165]
	v_mul_f64_e32 v[2:3], s[2:3], v[166:167]
	s_delay_alu instid0(VALU_DEP_3) | instskip(NEXT) | instid1(VALU_DEP_2)
	v_add_f64_e32 v[164:165], v[0:1], v[78:79]
	v_fma_f64 v[4:5], v[82:83], s[8:9], v[2:3]
	v_fma_f64 v[0:1], v[82:83], s[0:1], v[2:3]
	v_add_f64_e32 v[2:3], v[86:87], v[170:171]
	s_delay_alu instid0(VALU_DEP_3) | instskip(NEXT) | instid1(VALU_DEP_3)
	v_add_f64_e32 v[162:163], v[4:5], v[126:127]
	v_add_f64_e32 v[166:167], v[0:1], v[76:77]
	;; [unrolled: 1-line block ×3, first 2 shown]
	s_delay_alu instid0(VALU_DEP_4) | instskip(SKIP_1) | instid1(VALU_DEP_3)
	v_add_f64_e32 v[2:3], v[2:3], v[240:241]
	v_add_f64_e64 v[4:5], v[168:169], -v[176:177]
	v_add_f64_e32 v[0:1], v[0:1], v[230:231]
	s_delay_alu instid0(VALU_DEP_3) | instskip(NEXT) | instid1(VALU_DEP_2)
	v_add_f64_e32 v[2:3], v[2:3], v[228:229]
	v_add_f64_e32 v[0:1], v[0:1], v[202:203]
	s_delay_alu instid0(VALU_DEP_2) | instskip(NEXT) | instid1(VALU_DEP_2)
	v_add_f64_e32 v[2:3], v[2:3], v[158:159]
	v_add_f64_e32 v[0:1], v[0:1], v[156:157]
	s_delay_alu instid0(VALU_DEP_2) | instskip(NEXT) | instid1(VALU_DEP_2)
	;; [unrolled: 3-line block ×8, first 2 shown]
	v_add_f64_e32 v[2:3], v[2:3], v[174:175]
	v_add_f64_e32 v[0:1], v[0:1], v[172:173]
	s_delay_alu instid0(VALU_DEP_2) | instskip(SKIP_2) | instid1(VALU_DEP_4)
	v_add_f64_e32 v[126:127], v[2:3], v[80:81]
	v_add_f64_e32 v[2:3], v[170:171], v[80:81]
	v_mul_f64_e32 v[80:81], s[8:9], v[6:7]
	v_add_f64_e32 v[124:125], v[0:1], v[176:177]
	v_add_f64_e32 v[0:1], v[168:169], v[176:177]
	s_delay_alu instid0(VALU_DEP_4)
	v_mul_f64_e32 v[12:13], s[20:21], v[2:3]
	v_mul_f64_e32 v[76:77], s[14:15], v[2:3]
	;; [unrolled: 1-line block ×8, first 2 shown]
	v_fma_f64 v[10:11], v[0:1], s[20:21], v[8:9]
	v_fma_f64 v[14:15], v[4:5], s[22:23], v[12:13]
	;; [unrolled: 1-line block ×13, first 2 shown]
	v_fma_f64 v[8:9], v[0:1], s[20:21], -v[8:9]
	v_fma_f64 v[18:19], v[0:1], s[14:15], v[16:17]
	v_fma_f64 v[16:17], v[0:1], s[14:15], -v[16:17]
	v_fma_f64 v[82:83], v[0:1], s[2:3], v[80:81]
	v_fma_f64 v[80:81], v[0:1], s[2:3], -v[80:81]
	v_fma_f64 v[178:179], v[0:1], s[24:25], v[176:177]
	v_fma_f64 v[176:177], v[0:1], s[24:25], -v[176:177]
	v_fma_f64 v[186:187], v[0:1], s[34:35], v[184:185]
	v_fma_f64 v[184:185], v[0:1], s[34:35], -v[184:185]
	v_fma_f64 v[192:193], v[0:1], s[40:41], v[6:7]
	v_fma_f64 v[0:1], v[0:1], s[40:41], -v[6:7]
	v_add_f64_e32 v[4:5], v[230:231], v[172:173]
	v_add_f64_e32 v[6:7], v[240:241], v[174:175]
	;; [unrolled: 1-line block ×15, first 2 shown]
	v_add_f64_e64 v[86:87], v[240:241], -v[174:175]
	v_add_f64_e32 v[8:9], v[84:85], v[8:9]
	v_add_f64_e32 v[18:19], v[84:85], v[18:19]
	;; [unrolled: 1-line block ×11, first 2 shown]
	v_add_f64_e64 v[84:85], v[230:231], -v[172:173]
	v_mul_f64_e32 v[172:173], s[10:11], v[86:87]
	s_delay_alu instid0(VALU_DEP_1) | instskip(SKIP_1) | instid1(VALU_DEP_2)
	v_fma_f64 v[174:175], v[4:5], s[14:15], v[172:173]
	v_fma_f64 v[172:173], v[4:5], s[14:15], -v[172:173]
	v_add_f64_e32 v[10:11], v[174:175], v[10:11]
	v_mul_f64_e32 v[174:175], s[14:15], v[6:7]
	s_delay_alu instid0(VALU_DEP_3) | instskip(NEXT) | instid1(VALU_DEP_2)
	v_add_f64_e32 v[8:9], v[172:173], v[8:9]
	v_fma_f64 v[172:173], v[84:85], s[10:11], v[174:175]
	v_fma_f64 v[196:197], v[84:85], s[16:17], v[174:175]
	s_delay_alu instid0(VALU_DEP_2) | instskip(SKIP_1) | instid1(VALU_DEP_3)
	v_add_f64_e32 v[12:13], v[172:173], v[12:13]
	v_mul_f64_e32 v[172:173], s[18:19], v[86:87]
	v_add_f64_e32 v[14:15], v[196:197], v[14:15]
	s_delay_alu instid0(VALU_DEP_2) | instskip(SKIP_1) | instid1(VALU_DEP_2)
	v_fma_f64 v[174:175], v[4:5], s[24:25], v[172:173]
	v_fma_f64 v[172:173], v[4:5], s[24:25], -v[172:173]
	v_add_f64_e32 v[18:19], v[174:175], v[18:19]
	v_mul_f64_e32 v[174:175], s[24:25], v[6:7]
	s_delay_alu instid0(VALU_DEP_3) | instskip(NEXT) | instid1(VALU_DEP_2)
	v_add_f64_e32 v[16:17], v[172:173], v[16:17]
	v_fma_f64 v[172:173], v[84:85], s[18:19], v[174:175]
	v_fma_f64 v[196:197], v[84:85], s[28:29], v[174:175]
	s_delay_alu instid0(VALU_DEP_2) | instskip(SKIP_1) | instid1(VALU_DEP_3)
	v_add_f64_e32 v[76:77], v[172:173], v[76:77]
	v_mul_f64_e32 v[172:173], s[38:39], v[86:87]
	v_add_f64_e32 v[78:79], v[196:197], v[78:79]
	s_delay_alu instid0(VALU_DEP_2) | instskip(SKIP_1) | instid1(VALU_DEP_2)
	;; [unrolled: 13-line block ×3, first 2 shown]
	v_fma_f64 v[174:175], v[4:5], s[34:35], v[172:173]
	v_fma_f64 v[172:173], v[4:5], s[34:35], -v[172:173]
	v_add_f64_e32 v[174:175], v[174:175], v[178:179]
	v_mul_f64_e32 v[178:179], s[34:35], v[6:7]
	s_delay_alu instid0(VALU_DEP_3) | instskip(NEXT) | instid1(VALU_DEP_2)
	v_add_f64_e32 v[172:173], v[172:173], v[176:177]
	v_fma_f64 v[196:197], v[84:85], s[30:31], v[178:179]
	v_fma_f64 v[176:177], v[84:85], s[36:37], v[178:179]
	v_mul_f64_e32 v[178:179], s[0:1], v[86:87]
	v_mul_f64_e32 v[86:87], s[22:23], v[86:87]
	s_delay_alu instid0(VALU_DEP_4) | instskip(NEXT) | instid1(VALU_DEP_4)
	v_add_f64_e32 v[182:183], v[196:197], v[182:183]
	v_add_f64_e32 v[176:177], v[176:177], v[180:181]
	s_delay_alu instid0(VALU_DEP_4) | instskip(SKIP_1) | instid1(VALU_DEP_2)
	v_fma_f64 v[180:181], v[4:5], s[2:3], v[178:179]
	v_fma_f64 v[178:179], v[4:5], s[2:3], -v[178:179]
	v_add_f64_e32 v[180:181], v[180:181], v[186:187]
	v_mul_f64_e32 v[186:187], s[2:3], v[6:7]
	s_delay_alu instid0(VALU_DEP_3) | instskip(SKIP_1) | instid1(VALU_DEP_3)
	v_add_f64_e32 v[178:179], v[178:179], v[184:185]
	v_mul_f64_e32 v[6:7], s[20:21], v[6:7]
	v_fma_f64 v[196:197], v[84:85], s[8:9], v[186:187]
	v_fma_f64 v[184:185], v[84:85], s[0:1], v[186:187]
	;; [unrolled: 1-line block ×3, first 2 shown]
	v_fma_f64 v[4:5], v[4:5], s[20:21], -v[86:87]
	v_add_f64_e64 v[86:87], v[228:229], -v[242:243]
	v_add_f64_e32 v[190:191], v[196:197], v[190:191]
	v_add_f64_e32 v[184:185], v[184:185], v[188:189]
	v_fma_f64 v[188:189], v[84:85], s[26:27], v[6:7]
	v_add_f64_e32 v[0:1], v[4:5], v[0:1]
	v_fma_f64 v[4:5], v[84:85], s[22:23], v[6:7]
	v_add_f64_e64 v[84:85], v[202:203], -v[150:151]
	v_add_f64_e32 v[186:187], v[186:187], v[192:193]
	v_add_f64_e32 v[6:7], v[228:229], v[242:243]
	v_add_f64_e32 v[188:189], v[188:189], v[194:195]
	v_add_f64_e32 v[2:3], v[4:5], v[2:3]
	v_add_f64_e32 v[4:5], v[202:203], v[150:151]
	v_mul_f64_e32 v[150:151], s[8:9], v[86:87]
	s_delay_alu instid0(VALU_DEP_1) | instskip(SKIP_1) | instid1(VALU_DEP_2)
	v_fma_f64 v[192:193], v[4:5], s[2:3], v[150:151]
	v_fma_f64 v[150:151], v[4:5], s[2:3], -v[150:151]
	v_add_f64_e32 v[10:11], v[192:193], v[10:11]
	v_mul_f64_e32 v[192:193], s[2:3], v[6:7]
	s_delay_alu instid0(VALU_DEP_3) | instskip(NEXT) | instid1(VALU_DEP_2)
	v_add_f64_e32 v[8:9], v[150:151], v[8:9]
	v_fma_f64 v[150:151], v[84:85], s[8:9], v[192:193]
	v_fma_f64 v[194:195], v[84:85], s[0:1], v[192:193]
	s_delay_alu instid0(VALU_DEP_2) | instskip(SKIP_1) | instid1(VALU_DEP_3)
	v_add_f64_e32 v[12:13], v[150:151], v[12:13]
	v_mul_f64_e32 v[150:151], s[38:39], v[86:87]
	v_add_f64_e32 v[14:15], v[194:195], v[14:15]
	s_delay_alu instid0(VALU_DEP_2) | instskip(SKIP_1) | instid1(VALU_DEP_2)
	v_fma_f64 v[192:193], v[4:5], s[40:41], v[150:151]
	v_fma_f64 v[150:151], v[4:5], s[40:41], -v[150:151]
	v_add_f64_e32 v[18:19], v[192:193], v[18:19]
	v_mul_f64_e32 v[192:193], s[40:41], v[6:7]
	s_delay_alu instid0(VALU_DEP_3) | instskip(NEXT) | instid1(VALU_DEP_2)
	v_add_f64_e32 v[16:17], v[150:151], v[16:17]
	v_fma_f64 v[150:151], v[84:85], s[38:39], v[192:193]
	v_fma_f64 v[194:195], v[84:85], s[42:43], v[192:193]
	s_delay_alu instid0(VALU_DEP_2) | instskip(SKIP_1) | instid1(VALU_DEP_3)
	v_add_f64_e32 v[76:77], v[150:151], v[76:77]
	v_mul_f64_e32 v[150:151], s[28:29], v[86:87]
	v_add_f64_e32 v[78:79], v[194:195], v[78:79]
	s_delay_alu instid0(VALU_DEP_2) | instskip(SKIP_1) | instid1(VALU_DEP_2)
	;; [unrolled: 13-line block ×3, first 2 shown]
	v_fma_f64 v[192:193], v[4:5], s[20:21], v[168:169]
	v_fma_f64 v[168:169], v[4:5], s[20:21], -v[168:169]
	v_add_f64_e32 v[174:175], v[192:193], v[174:175]
	v_mul_f64_e32 v[192:193], s[20:21], v[6:7]
	s_delay_alu instid0(VALU_DEP_3) | instskip(NEXT) | instid1(VALU_DEP_2)
	v_add_f64_e32 v[168:169], v[168:169], v[172:173]
	v_fma_f64 v[172:173], v[84:85], s[22:23], v[192:193]
	v_fma_f64 v[194:195], v[84:85], s[26:27], v[192:193]
	s_delay_alu instid0(VALU_DEP_2) | instskip(SKIP_2) | instid1(VALU_DEP_4)
	v_add_f64_e32 v[172:173], v[172:173], v[176:177]
	v_mul_f64_e32 v[176:177], s[10:11], v[86:87]
	v_mul_f64_e32 v[86:87], s[30:31], v[86:87]
	v_add_f64_e32 v[182:183], v[194:195], v[182:183]
	s_delay_alu instid0(VALU_DEP_3) | instskip(SKIP_1) | instid1(VALU_DEP_2)
	v_fma_f64 v[192:193], v[4:5], s[14:15], v[176:177]
	v_fma_f64 v[176:177], v[4:5], s[14:15], -v[176:177]
	v_add_f64_e32 v[180:181], v[192:193], v[180:181]
	v_mul_f64_e32 v[192:193], s[14:15], v[6:7]
	s_delay_alu instid0(VALU_DEP_3) | instskip(SKIP_1) | instid1(VALU_DEP_3)
	v_add_f64_e32 v[176:177], v[176:177], v[178:179]
	v_mul_f64_e32 v[6:7], s[34:35], v[6:7]
	v_fma_f64 v[178:179], v[84:85], s[10:11], v[192:193]
	v_fma_f64 v[194:195], v[84:85], s[16:17], v[192:193]
	s_delay_alu instid0(VALU_DEP_2) | instskip(SKIP_4) | instid1(VALU_DEP_4)
	v_add_f64_e32 v[178:179], v[178:179], v[184:185]
	v_fma_f64 v[184:185], v[4:5], s[34:35], v[86:87]
	v_fma_f64 v[4:5], v[4:5], s[34:35], -v[86:87]
	v_add_f64_e64 v[86:87], v[158:159], -v[148:149]
	v_add_f64_e32 v[190:191], v[194:195], v[190:191]
	v_add_f64_e32 v[184:185], v[184:185], v[186:187]
	s_delay_alu instid0(VALU_DEP_4)
	v_add_f64_e32 v[0:1], v[4:5], v[0:1]
	v_fma_f64 v[4:5], v[84:85], s[30:31], v[6:7]
	v_fma_f64 v[186:187], v[84:85], s[36:37], v[6:7]
	v_add_f64_e32 v[6:7], v[158:159], v[148:149]
	v_mul_f64_e32 v[148:149], s[18:19], v[86:87]
	v_add_f64_e64 v[84:85], v[156:157], -v[200:201]
	v_add_f64_e32 v[2:3], v[4:5], v[2:3]
	v_add_f64_e32 v[4:5], v[156:157], v[200:201]
	;; [unrolled: 1-line block ×3, first 2 shown]
	s_delay_alu instid0(VALU_DEP_2) | instskip(SKIP_1) | instid1(VALU_DEP_2)
	v_fma_f64 v[156:157], v[4:5], s[24:25], v[148:149]
	v_fma_f64 v[148:149], v[4:5], s[24:25], -v[148:149]
	v_add_f64_e32 v[10:11], v[156:157], v[10:11]
	v_mul_f64_e32 v[156:157], s[24:25], v[6:7]
	s_delay_alu instid0(VALU_DEP_3) | instskip(NEXT) | instid1(VALU_DEP_2)
	v_add_f64_e32 v[8:9], v[148:149], v[8:9]
	v_fma_f64 v[148:149], v[84:85], s[18:19], v[156:157]
	v_fma_f64 v[158:159], v[84:85], s[28:29], v[156:157]
	s_delay_alu instid0(VALU_DEP_2) | instskip(SKIP_1) | instid1(VALU_DEP_3)
	v_add_f64_e32 v[12:13], v[148:149], v[12:13]
	v_mul_f64_e32 v[148:149], s[36:37], v[86:87]
	v_add_f64_e32 v[14:15], v[158:159], v[14:15]
	s_delay_alu instid0(VALU_DEP_2) | instskip(SKIP_1) | instid1(VALU_DEP_2)
	v_fma_f64 v[156:157], v[4:5], s[34:35], v[148:149]
	v_fma_f64 v[148:149], v[4:5], s[34:35], -v[148:149]
	v_add_f64_e32 v[18:19], v[156:157], v[18:19]
	v_mul_f64_e32 v[156:157], s[34:35], v[6:7]
	s_delay_alu instid0(VALU_DEP_3) | instskip(NEXT) | instid1(VALU_DEP_2)
	v_add_f64_e32 v[16:17], v[148:149], v[16:17]
	v_fma_f64 v[148:149], v[84:85], s[36:37], v[156:157]
	v_fma_f64 v[158:159], v[84:85], s[30:31], v[156:157]
	s_delay_alu instid0(VALU_DEP_2) | instskip(SKIP_1) | instid1(VALU_DEP_3)
	v_add_f64_e32 v[76:77], v[148:149], v[76:77]
	v_mul_f64_e32 v[148:149], s[22:23], v[86:87]
	v_add_f64_e32 v[78:79], v[158:159], v[78:79]
	;; [unrolled: 13-line block ×3, first 2 shown]
	v_mul_f64_e32 v[170:171], s[2:3], v[6:7]
	s_delay_alu instid0(VALU_DEP_3) | instskip(SKIP_1) | instid1(VALU_DEP_2)
	v_fma_f64 v[156:157], v[4:5], s[2:3], v[150:151]
	v_fma_f64 v[150:151], v[4:5], s[2:3], -v[150:151]
	v_add_f64_e32 v[156:157], v[156:157], v[174:175]
	s_delay_alu instid0(VALU_DEP_4) | instskip(NEXT) | instid1(VALU_DEP_3)
	v_fma_f64 v[174:175], v[84:85], s[0:1], v[170:171]
	v_add_f64_e32 v[150:151], v[150:151], v[168:169]
	v_fma_f64 v[168:169], v[84:85], s[8:9], v[170:171]
	v_mul_f64_e32 v[170:171], s[42:43], v[86:87]
	v_mul_f64_e32 v[86:87], s[16:17], v[86:87]
	v_add_f64_e32 v[174:175], v[174:175], v[182:183]
	s_delay_alu instid0(VALU_DEP_4) | instskip(NEXT) | instid1(VALU_DEP_4)
	v_add_f64_e32 v[168:169], v[168:169], v[172:173]
	v_fma_f64 v[172:173], v[4:5], s[40:41], v[170:171]
	v_fma_f64 v[170:171], v[4:5], s[40:41], -v[170:171]
	s_delay_alu instid0(VALU_DEP_2) | instskip(SKIP_1) | instid1(VALU_DEP_3)
	v_add_f64_e32 v[172:173], v[172:173], v[180:181]
	v_mul_f64_e32 v[180:181], s[40:41], v[6:7]
	v_add_f64_e32 v[170:171], v[170:171], v[176:177]
	v_mul_f64_e32 v[6:7], s[14:15], v[6:7]
	s_delay_alu instid0(VALU_DEP_3) | instskip(SKIP_1) | instid1(VALU_DEP_3)
	v_fma_f64 v[176:177], v[84:85], s[42:43], v[180:181]
	v_fma_f64 v[182:183], v[84:85], s[38:39], v[180:181]
	;; [unrolled: 1-line block ×3, first 2 shown]
	s_delay_alu instid0(VALU_DEP_3)
	v_add_f64_e32 v[176:177], v[176:177], v[178:179]
	v_fma_f64 v[178:179], v[4:5], s[14:15], v[86:87]
	v_fma_f64 v[4:5], v[4:5], s[14:15], -v[86:87]
	v_add_f64_e64 v[86:87], v[102:103], -v[154:155]
	v_add_f64_e32 v[180:181], v[180:181], v[186:187]
	v_add_f64_e64 v[186:187], v[94:95], -v[98:99]
	v_add_f64_e32 v[182:183], v[182:183], v[190:191]
	v_add_f64_e32 v[178:179], v[178:179], v[184:185]
	;; [unrolled: 1-line block ×3, first 2 shown]
	v_fma_f64 v[4:5], v[84:85], s[16:17], v[6:7]
	v_add_f64_e64 v[84:85], v[100:101], -v[152:153]
	v_add_f64_e32 v[6:7], v[102:103], v[154:155]
	v_add_f64_e64 v[184:185], v[92:93], -v[96:97]
	s_delay_alu instid0(VALU_DEP_4) | instskip(SKIP_2) | instid1(VALU_DEP_1)
	v_add_f64_e32 v[2:3], v[4:5], v[2:3]
	v_add_f64_e32 v[4:5], v[100:101], v[152:153]
	v_mul_f64_e32 v[100:101], s[30:31], v[86:87]
	v_fma_f64 v[102:103], v[4:5], s[34:35], v[100:101]
	v_fma_f64 v[100:101], v[4:5], s[34:35], -v[100:101]
	s_delay_alu instid0(VALU_DEP_2) | instskip(SKIP_1) | instid1(VALU_DEP_3)
	v_add_f64_e32 v[10:11], v[102:103], v[10:11]
	v_mul_f64_e32 v[102:103], s[34:35], v[6:7]
	v_add_f64_e32 v[8:9], v[100:101], v[8:9]
	s_delay_alu instid0(VALU_DEP_2) | instskip(SKIP_1) | instid1(VALU_DEP_2)
	v_fma_f64 v[100:101], v[84:85], s[30:31], v[102:103]
	v_fma_f64 v[152:153], v[84:85], s[36:37], v[102:103]
	v_add_f64_e32 v[12:13], v[100:101], v[12:13]
	v_mul_f64_e32 v[100:101], s[0:1], v[86:87]
	s_delay_alu instid0(VALU_DEP_3) | instskip(NEXT) | instid1(VALU_DEP_2)
	v_add_f64_e32 v[14:15], v[152:153], v[14:15]
	v_fma_f64 v[102:103], v[4:5], s[2:3], v[100:101]
	v_fma_f64 v[100:101], v[4:5], s[2:3], -v[100:101]
	s_delay_alu instid0(VALU_DEP_2) | instskip(SKIP_1) | instid1(VALU_DEP_3)
	v_add_f64_e32 v[18:19], v[102:103], v[18:19]
	v_mul_f64_e32 v[102:103], s[2:3], v[6:7]
	v_add_f64_e32 v[16:17], v[100:101], v[16:17]
	s_delay_alu instid0(VALU_DEP_2) | instskip(SKIP_1) | instid1(VALU_DEP_2)
	v_fma_f64 v[100:101], v[84:85], s[0:1], v[102:103]
	v_fma_f64 v[152:153], v[84:85], s[8:9], v[102:103]
	v_add_f64_e32 v[76:77], v[100:101], v[76:77]
	v_mul_f64_e32 v[100:101], s[10:11], v[86:87]
	s_delay_alu instid0(VALU_DEP_3) | instskip(NEXT) | instid1(VALU_DEP_2)
	v_add_f64_e32 v[78:79], v[152:153], v[78:79]
	v_fma_f64 v[102:103], v[4:5], s[14:15], v[100:101]
	v_fma_f64 v[100:101], v[4:5], s[14:15], -v[100:101]
	s_delay_alu instid0(VALU_DEP_2) | instskip(SKIP_1) | instid1(VALU_DEP_3)
	v_add_f64_e32 v[82:83], v[102:103], v[82:83]
	v_mul_f64_e32 v[102:103], s[14:15], v[6:7]
	v_add_f64_e32 v[80:81], v[100:101], v[80:81]
	s_delay_alu instid0(VALU_DEP_2) | instskip(SKIP_1) | instid1(VALU_DEP_2)
	v_fma_f64 v[100:101], v[84:85], s[10:11], v[102:103]
	v_fma_f64 v[152:153], v[84:85], s[16:17], v[102:103]
	v_add_f64_e32 v[154:155], v[100:101], v[148:149]
	v_mul_f64_e32 v[100:101], s[42:43], v[86:87]
	s_delay_alu instid0(VALU_DEP_3) | instskip(NEXT) | instid1(VALU_DEP_2)
	v_add_f64_e32 v[152:153], v[152:153], v[158:159]
	v_fma_f64 v[102:103], v[4:5], s[40:41], v[100:101]
	v_fma_f64 v[100:101], v[4:5], s[40:41], -v[100:101]
	s_delay_alu instid0(VALU_DEP_2) | instskip(SKIP_1) | instid1(VALU_DEP_1)
	v_add_f64_e32 v[156:157], v[102:103], v[156:157]
	v_mul_f64_e32 v[102:103], s[40:41], v[6:7]
	v_fma_f64 v[148:149], v[84:85], s[38:39], v[102:103]
	s_delay_alu instid0(VALU_DEP_1) | instskip(SKIP_2) | instid1(VALU_DEP_1)
	v_add_f64_e32 v[158:159], v[148:149], v[174:175]
	v_add_f64_e32 v[174:175], v[100:101], v[150:151]
	v_fma_f64 v[100:101], v[84:85], s[42:43], v[102:103]
	v_add_f64_e32 v[168:169], v[100:101], v[168:169]
	v_mul_f64_e32 v[100:101], s[22:23], v[86:87]
	v_mul_f64_e32 v[86:87], s[18:19], v[86:87]
	s_delay_alu instid0(VALU_DEP_2) | instskip(SKIP_1) | instid1(VALU_DEP_2)
	v_fma_f64 v[102:103], v[4:5], s[20:21], v[100:101]
	v_fma_f64 v[100:101], v[4:5], s[20:21], -v[100:101]
	v_add_f64_e32 v[172:173], v[102:103], v[172:173]
	v_mul_f64_e32 v[102:103], s[20:21], v[6:7]
	s_delay_alu instid0(VALU_DEP_3) | instskip(SKIP_1) | instid1(VALU_DEP_3)
	v_add_f64_e32 v[170:171], v[100:101], v[170:171]
	v_mul_f64_e32 v[6:7], s[24:25], v[6:7]
	v_fma_f64 v[100:101], v[84:85], s[22:23], v[102:103]
	v_fma_f64 v[148:149], v[84:85], s[26:27], v[102:103]
	s_delay_alu instid0(VALU_DEP_2) | instskip(SKIP_2) | instid1(VALU_DEP_4)
	v_add_f64_e32 v[176:177], v[100:101], v[176:177]
	v_fma_f64 v[100:101], v[4:5], s[24:25], v[86:87]
	v_fma_f64 v[4:5], v[4:5], s[24:25], -v[86:87]
	v_add_f64_e32 v[182:183], v[148:149], v[182:183]
	s_delay_alu instid0(VALU_DEP_3) | instskip(NEXT) | instid1(VALU_DEP_3)
	v_add_f64_e32 v[178:179], v[100:101], v[178:179]
	v_add_f64_e32 v[0:1], v[4:5], v[0:1]
	v_fma_f64 v[4:5], v[84:85], s[18:19], v[6:7]
	v_fma_f64 v[100:101], v[84:85], s[28:29], v[6:7]
	v_mul_f64_e32 v[84:85], s[38:39], v[186:187]
	v_add_f64_e32 v[6:7], v[94:95], v[98:99]
	s_delay_alu instid0(VALU_DEP_4) | instskip(SKIP_2) | instid1(VALU_DEP_2)
	v_add_f64_e32 v[2:3], v[4:5], v[2:3]
	v_add_f64_e32 v[4:5], v[92:93], v[96:97]
	;; [unrolled: 1-line block ×3, first 2 shown]
	v_fma_f64 v[86:87], v[4:5], s[40:41], v[84:85]
	s_delay_alu instid0(VALU_DEP_1) | instskip(SKIP_1) | instid1(VALU_DEP_1)
	v_add_f64_e32 v[100:101], v[86:87], v[10:11]
	v_mul_f64_e32 v[10:11], s[40:41], v[6:7]
	v_fma_f64 v[86:87], v[184:185], s[42:43], v[10:11]
	s_delay_alu instid0(VALU_DEP_1) | instskip(SKIP_1) | instid1(VALU_DEP_1)
	v_add_f64_e32 v[102:103], v[86:87], v[14:15]
	v_fma_f64 v[14:15], v[4:5], s[40:41], -v[84:85]
	v_add_f64_e32 v[84:85], v[14:15], v[8:9]
	v_fma_f64 v[8:9], v[184:185], s[38:39], v[10:11]
	s_delay_alu instid0(VALU_DEP_1) | instskip(SKIP_1) | instid1(VALU_DEP_1)
	v_add_f64_e32 v[86:87], v[8:9], v[12:13]
	v_mul_f64_e32 v[8:9], s[22:23], v[186:187]
	v_fma_f64 v[10:11], v[4:5], s[20:21], v[8:9]
	v_fma_f64 v[8:9], v[4:5], s[20:21], -v[8:9]
	s_delay_alu instid0(VALU_DEP_2) | instskip(SKIP_1) | instid1(VALU_DEP_3)
	v_add_f64_e32 v[200:201], v[10:11], v[18:19]
	v_mul_f64_e32 v[10:11], s[20:21], v[6:7]
	v_add_f64_e32 v[148:149], v[8:9], v[16:17]
	s_delay_alu instid0(VALU_DEP_2) | instskip(SKIP_1) | instid1(VALU_DEP_2)
	v_fma_f64 v[8:9], v[184:185], s[22:23], v[10:11]
	v_fma_f64 v[12:13], v[184:185], s[26:27], v[10:11]
	v_add_f64_e32 v[150:151], v[8:9], v[76:77]
	v_mul_f64_e32 v[8:9], s[30:31], v[186:187]
	s_delay_alu instid0(VALU_DEP_3) | instskip(NEXT) | instid1(VALU_DEP_2)
	v_add_f64_e32 v[202:203], v[12:13], v[78:79]
	v_fma_f64 v[10:11], v[4:5], s[34:35], v[8:9]
	v_fma_f64 v[8:9], v[4:5], s[34:35], -v[8:9]
	s_delay_alu instid0(VALU_DEP_2) | instskip(SKIP_1) | instid1(VALU_DEP_3)
	v_add_f64_e32 v[240:241], v[10:11], v[82:83]
	v_mul_f64_e32 v[10:11], s[34:35], v[6:7]
	v_add_f64_e32 v[92:93], v[8:9], v[80:81]
	s_delay_alu instid0(VALU_DEP_2) | instskip(SKIP_1) | instid1(VALU_DEP_2)
	v_fma_f64 v[8:9], v[184:185], s[30:31], v[10:11]
	v_fma_f64 v[12:13], v[184:185], s[36:37], v[10:11]
	v_add_f64_e32 v[94:95], v[8:9], v[154:155]
	v_mul_f64_e32 v[8:9], s[16:17], v[186:187]
	s_delay_alu instid0(VALU_DEP_3) | instskip(NEXT) | instid1(VALU_DEP_2)
	v_add_f64_e32 v[242:243], v[12:13], v[152:153]
	;; [unrolled: 13-line block ×3, first 2 shown]
	v_fma_f64 v[10:11], v[4:5], s[24:25], v[8:9]
	v_fma_f64 v[8:9], v[4:5], s[24:25], -v[8:9]
	s_delay_alu instid0(VALU_DEP_2) | instskip(SKIP_1) | instid1(VALU_DEP_3)
	v_add_f64_e32 v[80:81], v[10:11], v[172:173]
	v_mul_f64_e32 v[10:11], s[24:25], v[6:7]
	v_add_f64_e32 v[228:229], v[8:9], v[170:171]
	v_mul_f64_e32 v[6:7], s[2:3], v[6:7]
	s_delay_alu instid0(VALU_DEP_3) | instskip(SKIP_1) | instid1(VALU_DEP_2)
	v_fma_f64 v[8:9], v[184:185], s[18:19], v[10:11]
	v_fma_f64 v[12:13], v[184:185], s[28:29], v[10:11]
	v_add_f64_e32 v[230:231], v[8:9], v[176:177]
	v_mul_f64_e32 v[8:9], s[0:1], v[186:187]
	s_delay_alu instid0(VALU_DEP_3) | instskip(NEXT) | instid1(VALU_DEP_2)
	v_add_f64_e32 v[82:83], v[12:13], v[182:183]
	v_fma_f64 v[10:11], v[4:5], s[2:3], v[8:9]
	v_fma_f64 v[4:5], v[4:5], s[2:3], -v[8:9]
	s_delay_alu instid0(VALU_DEP_2) | instskip(SKIP_1) | instid1(VALU_DEP_3)
	v_add_f64_e32 v[156:157], v[10:11], v[178:179]
	v_fma_f64 v[10:11], v[184:185], s[8:9], v[6:7]
	v_add_f64_e32 v[152:153], v[4:5], v[0:1]
	v_fma_f64 v[0:1], v[184:185], s[0:1], v[6:7]
	s_delay_alu instid0(VALU_DEP_3) | instskip(NEXT) | instid1(VALU_DEP_2)
	v_add_f64_e32 v[158:159], v[10:11], v[180:181]
	v_add_f64_e32 v[154:155], v[0:1], v[2:3]
	ds_store_b128 v236, v[104:107]
	ds_store_b128 v236, v[112:115] offset:32
	ds_store_b128 v236, v[120:123] offset:64
	;; [unrolled: 1-line block ×12, first 2 shown]
	ds_store_b128 v235, v[124:127]
	ds_store_b128 v235, v[100:103] offset:32
	ds_store_b128 v235, v[200:203] offset:64
	;; [unrolled: 1-line block ×12, first 2 shown]
	global_wb scope:SCOPE_SE
	s_wait_dscnt 0x0
	s_barrier_signal -1
	s_barrier_wait -1
	global_inv scope:SCOPE_SE
	ds_load_b128 v[76:79], v234
	ds_load_b128 v[0:3], v234 offset:1664
	ds_load_b128 v[4:7], v234 offset:3328
	;; [unrolled: 1-line block ×25, first 2 shown]
	scratch_load_b128 v[104:107], off, off offset:560 th:TH_LOAD_LU ; 16-byte Folded Reload
	s_wait_loadcnt_dscnt 0x18
	v_mul_f64_e32 v[84:85], v[106:107], v[2:3]
	s_delay_alu instid0(VALU_DEP_1) | instskip(SKIP_2) | instid1(VALU_DEP_1)
	v_fma_f64 v[216:217], v[104:105], v[0:1], v[84:85]
	scratch_load_b128 v[84:87], off, off offset:496 th:TH_LOAD_LU ; 16-byte Folded Reload
	v_mul_f64_e32 v[0:1], v[106:107], v[0:1]
	v_fma_f64 v[218:219], v[104:105], v[2:3], -v[0:1]
	s_wait_loadcnt_dscnt 0x17
	v_mul_f64_e32 v[0:1], v[86:87], v[6:7]
	s_delay_alu instid0(VALU_DEP_1)
	v_fma_f64 v[140:141], v[84:85], v[4:5], v[0:1]
	v_mul_f64_e32 v[0:1], v[86:87], v[4:5]
	scratch_load_b128 v[2:5], off, off offset:480 th:TH_LOAD_LU ; 16-byte Folded Reload
	v_fma_f64 v[136:137], v[84:85], v[6:7], -v[0:1]
	s_wait_loadcnt_dscnt 0x16
	v_mul_f64_e32 v[0:1], v[4:5], v[10:11]
	s_delay_alu instid0(VALU_DEP_1)
	v_fma_f64 v[132:133], v[2:3], v[8:9], v[0:1]
	v_mul_f64_e32 v[0:1], v[4:5], v[8:9]
	scratch_load_b128 v[6:9], off, off offset:608 th:TH_LOAD_LU ; 16-byte Folded Reload
	v_fma_f64 v[128:129], v[2:3], v[10:11], -v[0:1]
	scratch_load_b128 v[2:5], off, off offset:464 th:TH_LOAD_LU ; 16-byte Folded Reload
	s_wait_loadcnt_dscnt 0x15
	v_mul_f64_e32 v[0:1], v[4:5], v[14:15]
	s_delay_alu instid0(VALU_DEP_1) | instskip(SKIP_1) | instid1(VALU_DEP_1)
	v_fma_f64 v[120:121], v[2:3], v[12:13], v[0:1]
	v_mul_f64_e32 v[0:1], v[4:5], v[12:13]
	v_fma_f64 v[122:123], v[2:3], v[14:15], -v[0:1]
	scratch_load_b128 v[2:5], off, off offset:576 th:TH_LOAD_LU ; 16-byte Folded Reload
	s_wait_loadcnt_dscnt 0x14
	v_mul_f64_e32 v[0:1], v[4:5], v[18:19]
	s_delay_alu instid0(VALU_DEP_1) | instskip(SKIP_1) | instid1(VALU_DEP_1)
	v_fma_f64 v[108:109], v[2:3], v[16:17], v[0:1]
	v_mul_f64_e32 v[0:1], v[4:5], v[16:17]
	;; [unrolled: 7-line block ×7, first 2 shown]
	v_fma_f64 v[130:131], v[2:3], v[102:103], -v[0:1]
	s_wait_dscnt 0xe
	v_mul_f64_e32 v[0:1], v[8:9], v[144:145]
	v_add_f64_e32 v[2:3], v[78:79], v[218:219]
	s_delay_alu instid0(VALU_DEP_2) | instskip(SKIP_4) | instid1(VALU_DEP_2)
	v_fma_f64 v[4:5], v[6:7], v[142:143], v[0:1]
	v_mul_f64_e32 v[0:1], v[8:9], v[142:143]
	scratch_load_b128 v[8:11], off, off offset:592 th:TH_LOAD_LU ; 16-byte Folded Reload
	v_add_f64_e32 v[2:3], v[2:3], v[136:137]
	v_fma_f64 v[138:139], v[6:7], v[144:145], -v[0:1]
	v_add_f64_e32 v[2:3], v[2:3], v[128:129]
	s_delay_alu instid0(VALU_DEP_1) | instskip(NEXT) | instid1(VALU_DEP_1)
	v_add_f64_e32 v[2:3], v[2:3], v[122:123]
	v_add_f64_e32 v[2:3], v[2:3], v[110:111]
	s_delay_alu instid0(VALU_DEP_1) | instskip(NEXT) | instid1(VALU_DEP_1)
	v_add_f64_e32 v[2:3], v[2:3], v[86:87]
	;; [unrolled: 3-line block ×3, first 2 shown]
	v_add_f64_e32 v[2:3], v[2:3], v[126:127]
	s_delay_alu instid0(VALU_DEP_1) | instskip(SKIP_2) | instid1(VALU_DEP_2)
	v_add_f64_e32 v[2:3], v[2:3], v[130:131]
	s_wait_loadcnt_dscnt 0xd
	v_mul_f64_e32 v[0:1], v[10:11], v[148:149]
	v_add_f64_e32 v[2:3], v[2:3], v[138:139]
	s_delay_alu instid0(VALU_DEP_2) | instskip(SKIP_3) | instid1(VALU_DEP_1)
	v_fma_f64 v[6:7], v[8:9], v[146:147], v[0:1]
	v_mul_f64_e32 v[0:1], v[10:11], v[146:147]
	scratch_load_b128 v[10:13], off, off offset:704 th:TH_LOAD_LU ; 16-byte Folded Reload
	v_fma_f64 v[8:9], v[8:9], v[148:149], -v[0:1]
	v_add_f64_e32 v[2:3], v[2:3], v[8:9]
	s_wait_loadcnt_dscnt 0xb
	v_mul_f64_e32 v[0:1], v[12:13], v[152:153]
	s_delay_alu instid0(VALU_DEP_1) | instskip(SKIP_1) | instid1(VALU_DEP_1)
	v_fma_f64 v[178:179], v[10:11], v[150:151], v[0:1]
	v_mul_f64_e32 v[0:1], v[12:13], v[150:151]
	v_fma_f64 v[176:177], v[10:11], v[152:153], -v[0:1]
	scratch_load_b128 v[10:13], off, off offset:688 th:TH_LOAD_LU ; 16-byte Folded Reload
	s_wait_loadcnt_dscnt 0xa
	v_mul_f64_e32 v[0:1], v[12:13], v[156:157]
	s_delay_alu instid0(VALU_DEP_1) | instskip(SKIP_1) | instid1(VALU_DEP_1)
	v_fma_f64 v[172:173], v[10:11], v[154:155], v[0:1]
	v_mul_f64_e32 v[0:1], v[12:13], v[154:155]
	v_fma_f64 v[168:169], v[10:11], v[156:157], -v[0:1]
	scratch_load_b128 v[10:13], off, off offset:672 th:TH_LOAD_LU ; 16-byte Folded Reload
	;; [unrolled: 7-line block ×11, first 2 shown]
	global_wb scope:SCOPE_SE
	s_wait_loadcnt_dscnt 0x0
	s_barrier_signal -1
	s_barrier_wait -1
	global_inv scope:SCOPE_SE
	v_mul_f64_e32 v[0:1], v[12:13], v[214:215]
	s_delay_alu instid0(VALU_DEP_1) | instskip(SKIP_3) | instid1(VALU_DEP_3)
	v_fma_f64 v[182:183], v[10:11], v[212:213], v[0:1]
	v_mul_f64_e32 v[0:1], v[12:13], v[212:213]
	v_add_f64_e32 v[12:13], v[218:219], v[8:9]
	v_add_f64_e64 v[8:9], v[218:219], -v[8:9]
	v_fma_f64 v[180:181], v[10:11], v[214:215], -v[0:1]
	v_add_f64_e32 v[0:1], v[76:77], v[216:217]
	v_add_f64_e32 v[10:11], v[216:217], v[6:7]
	s_delay_alu instid0(VALU_DEP_4)
	v_mul_f64_e32 v[14:15], s[26:27], v[8:9]
	v_mul_f64_e32 v[144:145], s[10:11], v[8:9]
	;; [unrolled: 1-line block ×12, first 2 shown]
	v_add_f64_e32 v[0:1], v[0:1], v[140:141]
	v_fma_f64 v[16:17], v[10:11], s[20:21], v[14:15]
	v_fma_f64 v[14:15], v[10:11], s[20:21], -v[14:15]
	v_fma_f64 v[146:147], v[10:11], s[14:15], v[144:145]
	v_fma_f64 v[144:145], v[10:11], s[14:15], -v[144:145]
	;; [unrolled: 2-line block ×6, first 2 shown]
	v_add_f64_e32 v[10:11], v[140:141], v[4:5]
	v_add_f64_e32 v[0:1], v[0:1], v[132:133]
	;; [unrolled: 1-line block ×14, first 2 shown]
	v_add_f64_e64 v[76:77], v[136:137], -v[138:139]
	v_add_f64_e32 v[0:1], v[0:1], v[120:121]
	s_delay_alu instid0(VALU_DEP_1) | instskip(NEXT) | instid1(VALU_DEP_1)
	v_add_f64_e32 v[0:1], v[0:1], v[108:109]
	v_add_f64_e32 v[0:1], v[0:1], v[84:85]
	s_delay_alu instid0(VALU_DEP_1) | instskip(NEXT) | instid1(VALU_DEP_1)
	v_add_f64_e32 v[0:1], v[0:1], v[104:105]
	;; [unrolled: 3-line block ×3, first 2 shown]
	v_add_f64_e32 v[0:1], v[0:1], v[134:135]
	s_delay_alu instid0(VALU_DEP_1) | instskip(SKIP_1) | instid1(VALU_DEP_2)
	v_add_f64_e32 v[0:1], v[0:1], v[4:5]
	v_add_f64_e64 v[4:5], v[140:141], -v[4:5]
	v_add_f64_e32 v[0:1], v[0:1], v[6:7]
	v_add_f64_e64 v[6:7], v[216:217], -v[6:7]
	s_delay_alu instid0(VALU_DEP_1)
	v_fma_f64 v[142:143], v[6:7], s[22:23], v[18:19]
	v_fma_f64 v[18:19], v[6:7], s[26:27], v[18:19]
	;; [unrolled: 1-line block ×12, first 2 shown]
	v_add_f64_e32 v[12:13], v[136:137], v[138:139]
	v_add_f64_e32 v[142:143], v[78:79], v[142:143]
	;; [unrolled: 1-line block ×13, first 2 shown]
	v_mul_f64_e32 v[78:79], s[10:11], v[76:77]
	v_mul_f64_e32 v[140:141], s[24:25], v[12:13]
	s_delay_alu instid0(VALU_DEP_2) | instskip(SKIP_1) | instid1(VALU_DEP_2)
	v_fma_f64 v[136:137], v[10:11], s[14:15], v[78:79]
	v_fma_f64 v[78:79], v[10:11], s[14:15], -v[78:79]
	v_add_f64_e32 v[16:17], v[136:137], v[16:17]
	v_mul_f64_e32 v[136:137], s[14:15], v[12:13]
	s_delay_alu instid0(VALU_DEP_3) | instskip(NEXT) | instid1(VALU_DEP_2)
	v_add_f64_e32 v[14:15], v[78:79], v[14:15]
	v_fma_f64 v[78:79], v[4:5], s[10:11], v[136:137]
	v_fma_f64 v[138:139], v[4:5], s[16:17], v[136:137]
	s_delay_alu instid0(VALU_DEP_2) | instskip(SKIP_1) | instid1(VALU_DEP_3)
	v_add_f64_e32 v[18:19], v[78:79], v[18:19]
	v_mul_f64_e32 v[78:79], s[18:19], v[76:77]
	v_add_f64_e32 v[138:139], v[138:139], v[142:143]
	v_fma_f64 v[142:143], v[4:5], s[28:29], v[140:141]
	v_fma_f64 v[140:141], v[4:5], s[18:19], v[140:141]
	s_delay_alu instid0(VALU_DEP_4) | instskip(SKIP_1) | instid1(VALU_DEP_4)
	v_fma_f64 v[136:137], v[10:11], s[24:25], v[78:79]
	v_fma_f64 v[78:79], v[10:11], s[24:25], -v[78:79]
	v_add_f64_e32 v[142:143], v[142:143], v[150:151]
	s_delay_alu instid0(VALU_DEP_4) | instskip(SKIP_4) | instid1(VALU_DEP_4)
	v_add_f64_e32 v[140:141], v[140:141], v[148:149]
	v_mul_f64_e32 v[148:149], s[40:41], v[12:13]
	v_add_f64_e32 v[136:137], v[136:137], v[146:147]
	v_add_f64_e32 v[78:79], v[78:79], v[144:145]
	v_mul_f64_e32 v[144:145], s[38:39], v[76:77]
	v_fma_f64 v[150:151], v[4:5], s[42:43], v[148:149]
	v_fma_f64 v[148:149], v[4:5], s[38:39], v[148:149]
	s_delay_alu instid0(VALU_DEP_3) | instskip(SKIP_1) | instid1(VALU_DEP_4)
	v_fma_f64 v[146:147], v[10:11], s[40:41], v[144:145]
	v_fma_f64 v[144:145], v[10:11], s[40:41], -v[144:145]
	v_add_f64_e32 v[150:151], v[150:151], v[186:187]
	s_delay_alu instid0(VALU_DEP_4) | instskip(SKIP_4) | instid1(VALU_DEP_4)
	v_add_f64_e32 v[148:149], v[148:149], v[184:185]
	v_mul_f64_e32 v[184:185], s[34:35], v[12:13]
	v_add_f64_e32 v[146:147], v[146:147], v[154:155]
	v_add_f64_e32 v[144:145], v[144:145], v[152:153]
	v_mul_f64_e32 v[152:153], s[36:37], v[76:77]
	v_fma_f64 v[186:187], v[4:5], s[30:31], v[184:185]
	v_fma_f64 v[184:185], v[4:5], s[36:37], v[184:185]
	s_delay_alu instid0(VALU_DEP_3) | instskip(SKIP_1) | instid1(VALU_DEP_4)
	v_fma_f64 v[154:155], v[10:11], s[34:35], v[152:153]
	v_fma_f64 v[152:153], v[10:11], s[34:35], -v[152:153]
	v_add_f64_e32 v[186:187], v[186:187], v[194:195]
	s_delay_alu instid0(VALU_DEP_4)
	v_add_f64_e32 v[184:185], v[184:185], v[192:193]
	v_mul_f64_e32 v[192:193], s[2:3], v[12:13]
	v_mul_f64_e32 v[12:13], s[20:21], v[12:13]
	v_add_f64_e32 v[154:155], v[154:155], v[190:191]
	v_add_f64_e32 v[152:153], v[152:153], v[188:189]
	v_mul_f64_e32 v[188:189], s[0:1], v[76:77]
	v_mul_f64_e32 v[76:77], s[22:23], v[76:77]
	v_fma_f64 v[194:195], v[4:5], s[8:9], v[192:193]
	v_fma_f64 v[192:193], v[4:5], s[0:1], v[192:193]
	s_delay_alu instid0(VALU_DEP_4) | instskip(SKIP_1) | instid1(VALU_DEP_4)
	v_fma_f64 v[190:191], v[10:11], s[2:3], v[188:189]
	v_fma_f64 v[188:189], v[10:11], s[2:3], -v[188:189]
	v_add_f64_e32 v[194:195], v[194:195], v[202:203]
	s_delay_alu instid0(VALU_DEP_4) | instskip(NEXT) | instid1(VALU_DEP_4)
	v_add_f64_e32 v[192:193], v[192:193], v[200:201]
	v_add_f64_e32 v[190:191], v[190:191], v[198:199]
	s_delay_alu instid0(VALU_DEP_4)
	v_add_f64_e32 v[188:189], v[188:189], v[196:197]
	v_fma_f64 v[196:197], v[10:11], s[20:21], v[76:77]
	v_fma_f64 v[198:199], v[4:5], s[26:27], v[12:13]
	v_fma_f64 v[10:11], v[10:11], s[20:21], -v[76:77]
	v_fma_f64 v[4:5], v[4:5], s[22:23], v[12:13]
	v_add_f64_e64 v[76:77], v[128:129], -v[130:131]
	v_add_f64_e64 v[12:13], v[132:133], -v[134:135]
	v_add_f64_e32 v[196:197], v[196:197], v[204:205]
	v_add_f64_e32 v[198:199], v[198:199], v[206:207]
	;; [unrolled: 1-line block ×6, first 2 shown]
	v_mul_f64_e32 v[128:129], s[8:9], v[76:77]
	s_delay_alu instid0(VALU_DEP_2) | instskip(NEXT) | instid1(VALU_DEP_2)
	v_mul_f64_e32 v[134:135], s[40:41], v[10:11]
	v_fma_f64 v[130:131], v[6:7], s[2:3], v[128:129]
	v_fma_f64 v[128:129], v[6:7], s[2:3], -v[128:129]
	s_delay_alu instid0(VALU_DEP_2) | instskip(SKIP_1) | instid1(VALU_DEP_3)
	v_add_f64_e32 v[16:17], v[130:131], v[16:17]
	v_mul_f64_e32 v[130:131], s[2:3], v[10:11]
	v_add_f64_e32 v[14:15], v[128:129], v[14:15]
	s_delay_alu instid0(VALU_DEP_2) | instskip(SKIP_1) | instid1(VALU_DEP_2)
	v_fma_f64 v[128:129], v[12:13], s[8:9], v[130:131]
	v_fma_f64 v[132:133], v[12:13], s[0:1], v[130:131]
	v_add_f64_e32 v[18:19], v[128:129], v[18:19]
	v_mul_f64_e32 v[128:129], s[38:39], v[76:77]
	s_delay_alu instid0(VALU_DEP_3) | instskip(NEXT) | instid1(VALU_DEP_2)
	v_add_f64_e32 v[132:133], v[132:133], v[138:139]
	v_fma_f64 v[130:131], v[6:7], s[40:41], v[128:129]
	v_fma_f64 v[128:129], v[6:7], s[40:41], -v[128:129]
	s_delay_alu instid0(VALU_DEP_2) | instskip(SKIP_1) | instid1(VALU_DEP_3)
	v_add_f64_e32 v[130:131], v[130:131], v[136:137]
	v_fma_f64 v[136:137], v[12:13], s[42:43], v[134:135]
	v_add_f64_e32 v[78:79], v[128:129], v[78:79]
	v_fma_f64 v[128:129], v[12:13], s[38:39], v[134:135]
	v_mul_f64_e32 v[134:135], s[28:29], v[76:77]
	s_delay_alu instid0(VALU_DEP_4) | instskip(NEXT) | instid1(VALU_DEP_3)
	v_add_f64_e32 v[136:137], v[136:137], v[142:143]
	v_add_f64_e32 v[128:129], v[128:129], v[140:141]
	s_delay_alu instid0(VALU_DEP_3) | instskip(SKIP_2) | instid1(VALU_DEP_3)
	v_fma_f64 v[138:139], v[6:7], s[24:25], v[134:135]
	v_fma_f64 v[134:135], v[6:7], s[24:25], -v[134:135]
	v_mul_f64_e32 v[140:141], s[24:25], v[10:11]
	v_add_f64_e32 v[138:139], v[138:139], v[146:147]
	s_delay_alu instid0(VALU_DEP_3) | instskip(SKIP_1) | instid1(VALU_DEP_4)
	v_add_f64_e32 v[134:135], v[134:135], v[144:145]
	v_mul_f64_e32 v[144:145], s[22:23], v[76:77]
	v_fma_f64 v[142:143], v[12:13], s[18:19], v[140:141]
	v_fma_f64 v[140:141], v[12:13], s[28:29], v[140:141]
	s_delay_alu instid0(VALU_DEP_3) | instskip(SKIP_1) | instid1(VALU_DEP_3)
	v_fma_f64 v[146:147], v[6:7], s[20:21], v[144:145]
	v_fma_f64 v[144:145], v[6:7], s[20:21], -v[144:145]
	v_add_f64_e32 v[140:141], v[140:141], v[148:149]
	v_mul_f64_e32 v[148:149], s[20:21], v[10:11]
	v_add_f64_e32 v[142:143], v[142:143], v[150:151]
	v_add_f64_e32 v[146:147], v[146:147], v[154:155]
	;; [unrolled: 1-line block ×3, first 2 shown]
	v_mul_f64_e32 v[152:153], s[10:11], v[76:77]
	v_fma_f64 v[150:151], v[12:13], s[26:27], v[148:149]
	v_fma_f64 v[148:149], v[12:13], s[22:23], v[148:149]
	v_mul_f64_e32 v[76:77], s[30:31], v[76:77]
	s_delay_alu instid0(VALU_DEP_4) | instskip(SKIP_1) | instid1(VALU_DEP_4)
	v_fma_f64 v[154:155], v[6:7], s[14:15], v[152:153]
	v_fma_f64 v[152:153], v[6:7], s[14:15], -v[152:153]
	v_add_f64_e32 v[148:149], v[148:149], v[184:185]
	v_mul_f64_e32 v[184:185], s[14:15], v[10:11]
	v_mul_f64_e32 v[10:11], s[34:35], v[10:11]
	v_add_f64_e32 v[150:151], v[150:151], v[186:187]
	v_add_f64_e32 v[154:155], v[154:155], v[190:191]
	;; [unrolled: 1-line block ×3, first 2 shown]
	v_fma_f64 v[188:189], v[6:7], s[34:35], v[76:77]
	v_fma_f64 v[6:7], v[6:7], s[34:35], -v[76:77]
	v_add_f64_e64 v[76:77], v[122:123], -v[126:127]
	v_fma_f64 v[186:187], v[12:13], s[16:17], v[184:185]
	v_fma_f64 v[184:185], v[12:13], s[10:11], v[184:185]
	;; [unrolled: 1-line block ×3, first 2 shown]
	v_add_f64_e32 v[188:189], v[188:189], v[196:197]
	v_add_f64_e32 v[6:7], v[6:7], v[8:9]
	v_fma_f64 v[8:9], v[12:13], s[30:31], v[10:11]
	v_add_f64_e64 v[12:13], v[120:121], -v[124:125]
	v_add_f64_e32 v[10:11], v[122:123], v[126:127]
	v_add_f64_e32 v[184:185], v[184:185], v[192:193]
	;; [unrolled: 1-line block ×6, first 2 shown]
	v_mul_f64_e32 v[120:121], s[18:19], v[76:77]
	v_mul_f64_e32 v[126:127], s[34:35], v[10:11]
	s_delay_alu instid0(VALU_DEP_2) | instskip(SKIP_1) | instid1(VALU_DEP_2)
	v_fma_f64 v[122:123], v[8:9], s[24:25], v[120:121]
	v_fma_f64 v[120:121], v[8:9], s[24:25], -v[120:121]
	v_add_f64_e32 v[16:17], v[122:123], v[16:17]
	v_mul_f64_e32 v[122:123], s[24:25], v[10:11]
	s_delay_alu instid0(VALU_DEP_3) | instskip(NEXT) | instid1(VALU_DEP_2)
	v_add_f64_e32 v[14:15], v[120:121], v[14:15]
	v_fma_f64 v[120:121], v[12:13], s[18:19], v[122:123]
	v_fma_f64 v[124:125], v[12:13], s[28:29], v[122:123]
	s_delay_alu instid0(VALU_DEP_2) | instskip(SKIP_1) | instid1(VALU_DEP_3)
	v_add_f64_e32 v[18:19], v[120:121], v[18:19]
	v_mul_f64_e32 v[120:121], s[36:37], v[76:77]
	v_add_f64_e32 v[124:125], v[124:125], v[132:133]
	v_mul_f64_e32 v[132:133], s[20:21], v[10:11]
	s_delay_alu instid0(VALU_DEP_3) | instskip(SKIP_1) | instid1(VALU_DEP_2)
	v_fma_f64 v[122:123], v[8:9], s[34:35], v[120:121]
	v_fma_f64 v[120:121], v[8:9], s[34:35], -v[120:121]
	v_add_f64_e32 v[122:123], v[122:123], v[130:131]
	v_fma_f64 v[130:131], v[12:13], s[30:31], v[126:127]
	s_delay_alu instid0(VALU_DEP_3) | instskip(SKIP_2) | instid1(VALU_DEP_4)
	v_add_f64_e32 v[78:79], v[120:121], v[78:79]
	v_fma_f64 v[120:121], v[12:13], s[36:37], v[126:127]
	v_mul_f64_e32 v[126:127], s[22:23], v[76:77]
	v_add_f64_e32 v[130:131], v[130:131], v[136:137]
	v_fma_f64 v[136:137], v[12:13], s[26:27], v[132:133]
	s_delay_alu instid0(VALU_DEP_4) | instskip(NEXT) | instid1(VALU_DEP_4)
	v_add_f64_e32 v[120:121], v[120:121], v[128:129]
	v_fma_f64 v[128:129], v[8:9], s[20:21], v[126:127]
	v_fma_f64 v[126:127], v[8:9], s[20:21], -v[126:127]
	v_fma_f64 v[132:133], v[12:13], s[22:23], v[132:133]
	v_add_f64_e32 v[136:137], v[136:137], v[142:143]
	s_delay_alu instid0(VALU_DEP_4) | instskip(NEXT) | instid1(VALU_DEP_4)
	v_add_f64_e32 v[128:129], v[128:129], v[138:139]
	v_add_f64_e32 v[126:127], v[126:127], v[134:135]
	v_mul_f64_e32 v[134:135], s[8:9], v[76:77]
	v_add_f64_e32 v[132:133], v[132:133], v[140:141]
	v_mul_f64_e32 v[140:141], s[2:3], v[10:11]
	s_delay_alu instid0(VALU_DEP_3) | instskip(SKIP_1) | instid1(VALU_DEP_3)
	v_fma_f64 v[138:139], v[8:9], s[2:3], v[134:135]
	v_fma_f64 v[134:135], v[8:9], s[2:3], -v[134:135]
	v_fma_f64 v[142:143], v[12:13], s[0:1], v[140:141]
	v_fma_f64 v[140:141], v[12:13], s[8:9], v[140:141]
	s_delay_alu instid0(VALU_DEP_4) | instskip(NEXT) | instid1(VALU_DEP_4)
	v_add_f64_e32 v[138:139], v[138:139], v[146:147]
	v_add_f64_e32 v[134:135], v[134:135], v[144:145]
	v_mul_f64_e32 v[144:145], s[42:43], v[76:77]
	v_mul_f64_e32 v[76:77], s[16:17], v[76:77]
	v_add_f64_e32 v[140:141], v[140:141], v[148:149]
	v_mul_f64_e32 v[148:149], s[40:41], v[10:11]
	v_mul_f64_e32 v[10:11], s[14:15], v[10:11]
	v_add_f64_e32 v[142:143], v[142:143], v[150:151]
	v_fma_f64 v[146:147], v[8:9], s[40:41], v[144:145]
	v_fma_f64 v[144:145], v[8:9], s[40:41], -v[144:145]
	v_fma_f64 v[150:151], v[12:13], s[38:39], v[148:149]
	v_fma_f64 v[148:149], v[12:13], s[42:43], v[148:149]
	s_delay_alu instid0(VALU_DEP_4) | instskip(NEXT) | instid1(VALU_DEP_4)
	v_add_f64_e32 v[146:147], v[146:147], v[154:155]
	v_add_f64_e32 v[144:145], v[144:145], v[152:153]
	v_fma_f64 v[152:153], v[8:9], s[14:15], v[76:77]
	v_fma_f64 v[8:9], v[8:9], s[14:15], -v[76:77]
	v_add_f64_e64 v[76:77], v[110:111], -v[118:119]
	v_fma_f64 v[154:155], v[12:13], s[10:11], v[10:11]
	v_add_f64_e32 v[148:149], v[148:149], v[184:185]
	v_add_f64_e32 v[150:151], v[150:151], v[186:187]
	;; [unrolled: 1-line block ×4, first 2 shown]
	v_fma_f64 v[8:9], v[12:13], s[16:17], v[10:11]
	v_add_f64_e64 v[12:13], v[108:109], -v[116:117]
	v_add_f64_e32 v[10:11], v[110:111], v[118:119]
	v_add_f64_e32 v[154:155], v[154:155], v[190:191]
	s_delay_alu instid0(VALU_DEP_4) | instskip(SKIP_2) | instid1(VALU_DEP_1)
	v_add_f64_e32 v[4:5], v[8:9], v[4:5]
	v_add_f64_e32 v[8:9], v[108:109], v[116:117]
	v_mul_f64_e32 v[108:109], s[30:31], v[76:77]
	v_fma_f64 v[110:111], v[8:9], s[34:35], v[108:109]
	v_fma_f64 v[108:109], v[8:9], s[34:35], -v[108:109]
	s_delay_alu instid0(VALU_DEP_2) | instskip(SKIP_1) | instid1(VALU_DEP_3)
	v_add_f64_e32 v[16:17], v[110:111], v[16:17]
	v_mul_f64_e32 v[110:111], s[34:35], v[10:11]
	v_add_f64_e32 v[14:15], v[108:109], v[14:15]
	s_delay_alu instid0(VALU_DEP_2) | instskip(SKIP_1) | instid1(VALU_DEP_2)
	v_fma_f64 v[108:109], v[12:13], s[30:31], v[110:111]
	v_fma_f64 v[116:117], v[12:13], s[36:37], v[110:111]
	v_add_f64_e32 v[18:19], v[108:109], v[18:19]
	v_mul_f64_e32 v[108:109], s[0:1], v[76:77]
	s_delay_alu instid0(VALU_DEP_3) | instskip(NEXT) | instid1(VALU_DEP_2)
	v_add_f64_e32 v[116:117], v[116:117], v[124:125]
	v_fma_f64 v[110:111], v[8:9], s[2:3], v[108:109]
	v_fma_f64 v[108:109], v[8:9], s[2:3], -v[108:109]
	s_delay_alu instid0(VALU_DEP_2) | instskip(SKIP_1) | instid1(VALU_DEP_3)
	v_add_f64_e32 v[118:119], v[110:111], v[122:123]
	v_mul_f64_e32 v[110:111], s[2:3], v[10:11]
	v_add_f64_e32 v[78:79], v[108:109], v[78:79]
	s_delay_alu instid0(VALU_DEP_2) | instskip(SKIP_1) | instid1(VALU_DEP_2)
	v_fma_f64 v[108:109], v[12:13], s[0:1], v[110:111]
	v_fma_f64 v[122:123], v[12:13], s[8:9], v[110:111]
	v_add_f64_e32 v[124:125], v[108:109], v[120:121]
	v_mul_f64_e32 v[108:109], s[10:11], v[76:77]
	s_delay_alu instid0(VALU_DEP_3) | instskip(NEXT) | instid1(VALU_DEP_2)
	v_add_f64_e32 v[122:123], v[122:123], v[130:131]
	;; [unrolled: 13-line block ×3, first 2 shown]
	v_fma_f64 v[110:111], v[8:9], s[40:41], v[108:109]
	v_fma_f64 v[108:109], v[8:9], s[40:41], -v[108:109]
	s_delay_alu instid0(VALU_DEP_2) | instskip(SKIP_1) | instid1(VALU_DEP_1)
	v_add_f64_e32 v[136:137], v[110:111], v[138:139]
	v_mul_f64_e32 v[110:111], s[40:41], v[10:11]
	v_fma_f64 v[120:121], v[12:13], s[38:39], v[110:111]
	s_delay_alu instid0(VALU_DEP_1) | instskip(SKIP_2) | instid1(VALU_DEP_1)
	v_add_f64_e32 v[138:139], v[120:121], v[142:143]
	v_add_f64_e32 v[142:143], v[108:109], v[134:135]
	v_fma_f64 v[108:109], v[12:13], s[42:43], v[110:111]
	v_add_f64_e32 v[140:141], v[108:109], v[140:141]
	v_mul_f64_e32 v[108:109], s[22:23], v[76:77]
	v_mul_f64_e32 v[76:77], s[18:19], v[76:77]
	s_delay_alu instid0(VALU_DEP_2) | instskip(SKIP_1) | instid1(VALU_DEP_2)
	v_fma_f64 v[110:111], v[8:9], s[20:21], v[108:109]
	v_fma_f64 v[108:109], v[8:9], s[20:21], -v[108:109]
	v_add_f64_e32 v[146:147], v[110:111], v[146:147]
	v_mul_f64_e32 v[110:111], s[20:21], v[10:11]
	s_delay_alu instid0(VALU_DEP_3) | instskip(SKIP_1) | instid1(VALU_DEP_3)
	v_add_f64_e32 v[144:145], v[108:109], v[144:145]
	v_mul_f64_e32 v[10:11], s[24:25], v[10:11]
	v_fma_f64 v[108:109], v[12:13], s[22:23], v[110:111]
	v_fma_f64 v[120:121], v[12:13], s[26:27], v[110:111]
	s_delay_alu instid0(VALU_DEP_2) | instskip(SKIP_4) | instid1(VALU_DEP_4)
	v_add_f64_e32 v[148:149], v[108:109], v[148:149]
	v_fma_f64 v[108:109], v[8:9], s[24:25], v[76:77]
	v_fma_f64 v[8:9], v[8:9], s[24:25], -v[76:77]
	v_add_f64_e64 v[76:77], v[86:87], -v[106:107]
	v_add_f64_e32 v[150:151], v[120:121], v[150:151]
	v_add_f64_e32 v[152:153], v[108:109], v[152:153]
	s_delay_alu instid0(VALU_DEP_4) | instskip(SKIP_4) | instid1(VALU_DEP_4)
	v_add_f64_e32 v[6:7], v[8:9], v[6:7]
	v_fma_f64 v[8:9], v[12:13], s[18:19], v[10:11]
	v_fma_f64 v[108:109], v[12:13], s[28:29], v[10:11]
	v_add_f64_e64 v[12:13], v[84:85], -v[104:105]
	v_add_f64_e32 v[10:11], v[86:87], v[106:107]
	v_add_f64_e32 v[4:5], v[8:9], v[4:5]
	v_add_f64_e32 v[8:9], v[84:85], v[104:105]
	v_mul_f64_e32 v[84:85], s[38:39], v[76:77]
	v_add_f64_e32 v[154:155], v[108:109], v[154:155]
	s_delay_alu instid0(VALU_DEP_2) | instskip(SKIP_1) | instid1(VALU_DEP_2)
	v_fma_f64 v[86:87], v[8:9], s[40:41], v[84:85]
	v_fma_f64 v[84:85], v[8:9], s[40:41], -v[84:85]
	v_add_f64_e32 v[108:109], v[86:87], v[16:17]
	v_mul_f64_e32 v[16:17], s[40:41], v[10:11]
	s_delay_alu instid0(VALU_DEP_3) | instskip(NEXT) | instid1(VALU_DEP_2)
	v_add_f64_e32 v[104:105], v[84:85], v[14:15]
	v_fma_f64 v[14:15], v[12:13], s[38:39], v[16:17]
	v_fma_f64 v[86:87], v[12:13], s[42:43], v[16:17]
	s_delay_alu instid0(VALU_DEP_2) | instskip(SKIP_1) | instid1(VALU_DEP_3)
	v_add_f64_e32 v[106:107], v[14:15], v[18:19]
	v_mul_f64_e32 v[14:15], s[22:23], v[76:77]
	v_add_f64_e32 v[110:111], v[86:87], v[116:117]
	s_delay_alu instid0(VALU_DEP_2) | instskip(SKIP_1) | instid1(VALU_DEP_2)
	v_fma_f64 v[16:17], v[8:9], s[20:21], v[14:15]
	v_fma_f64 v[14:15], v[8:9], s[20:21], -v[14:15]
	v_add_f64_e32 v[120:121], v[16:17], v[118:119]
	v_mul_f64_e32 v[16:17], s[20:21], v[10:11]
	s_delay_alu instid0(VALU_DEP_3) | instskip(NEXT) | instid1(VALU_DEP_2)
	v_add_f64_e32 v[116:117], v[14:15], v[78:79]
	v_fma_f64 v[14:15], v[12:13], s[22:23], v[16:17]
	v_fma_f64 v[18:19], v[12:13], s[26:27], v[16:17]
	s_delay_alu instid0(VALU_DEP_2) | instskip(SKIP_1) | instid1(VALU_DEP_3)
	v_add_f64_e32 v[118:119], v[14:15], v[124:125]
	;; [unrolled: 13-line block ×4, first 2 shown]
	v_mul_f64_e32 v[14:15], s[18:19], v[76:77]
	v_add_f64_e32 v[134:135], v[18:19], v[138:139]
	s_delay_alu instid0(VALU_DEP_2) | instskip(SKIP_1) | instid1(VALU_DEP_2)
	v_fma_f64 v[16:17], v[8:9], s[24:25], v[14:15]
	v_fma_f64 v[14:15], v[8:9], s[24:25], -v[14:15]
	v_add_f64_e32 v[136:137], v[16:17], v[146:147]
	v_mul_f64_e32 v[16:17], s[24:25], v[10:11]
	s_delay_alu instid0(VALU_DEP_3) | instskip(SKIP_1) | instid1(VALU_DEP_3)
	v_add_f64_e32 v[140:141], v[14:15], v[144:145]
	v_mul_f64_e32 v[10:11], s[2:3], v[10:11]
	v_fma_f64 v[14:15], v[12:13], s[18:19], v[16:17]
	v_fma_f64 v[18:19], v[12:13], s[28:29], v[16:17]
	s_delay_alu instid0(VALU_DEP_2) | instskip(SKIP_1) | instid1(VALU_DEP_3)
	v_add_f64_e32 v[142:143], v[14:15], v[148:149]
	v_mul_f64_e32 v[14:15], s[0:1], v[76:77]
	v_add_f64_e32 v[138:139], v[18:19], v[150:151]
	s_delay_alu instid0(VALU_DEP_2) | instskip(SKIP_1) | instid1(VALU_DEP_2)
	v_fma_f64 v[16:17], v[8:9], s[2:3], v[14:15]
	v_fma_f64 v[8:9], v[8:9], s[2:3], -v[14:15]
	v_add_f64_e32 v[144:145], v[16:17], v[152:153]
	s_delay_alu instid0(VALU_DEP_2) | instskip(SKIP_4) | instid1(VALU_DEP_4)
	v_add_f64_e32 v[148:149], v[8:9], v[6:7]
	v_fma_f64 v[6:7], v[12:13], s[0:1], v[10:11]
	v_fma_f64 v[16:17], v[12:13], s[8:9], v[10:11]
	v_add_f64_e64 v[8:9], v[178:179], -v[182:183]
	v_add_f64_e64 v[10:11], v[176:177], -v[180:181]
	v_add_f64_e32 v[150:151], v[6:7], v[4:5]
	v_add_f64_e32 v[6:7], v[114:115], v[176:177]
	;; [unrolled: 1-line block ×4, first 2 shown]
	v_mul_f64_e32 v[12:13], s[26:27], v[10:11]
	v_mul_f64_e32 v[76:77], s[10:11], v[10:11]
	;; [unrolled: 1-line block ×4, first 2 shown]
	v_add_f64_e32 v[6:7], v[6:7], v[168:169]
	v_add_f64_e32 v[4:5], v[4:5], v[172:173]
	s_delay_alu instid0(VALU_DEP_2) | instskip(NEXT) | instid1(VALU_DEP_2)
	v_add_f64_e32 v[6:7], v[6:7], v[160:161]
	v_add_f64_e32 v[4:5], v[4:5], v[164:165]
	s_delay_alu instid0(VALU_DEP_2) | instskip(NEXT) | instid1(VALU_DEP_2)
	;; [unrolled: 3-line block ×9, first 2 shown]
	v_add_f64_e32 v[6:7], v[6:7], v[170:171]
	v_add_f64_e32 v[4:5], v[4:5], v[174:175]
	s_delay_alu instid0(VALU_DEP_2) | instskip(SKIP_1) | instid1(VALU_DEP_3)
	v_add_f64_e32 v[154:155], v[6:7], v[180:181]
	v_add_f64_e32 v[6:7], v[176:177], v[180:181]
	;; [unrolled: 1-line block ×4, first 2 shown]
	v_mul_f64_e32 v[180:181], s[8:9], v[10:11]
	v_mul_f64_e32 v[10:11], s[38:39], v[10:11]
	;; [unrolled: 1-line block ×8, first 2 shown]
	v_fma_f64 v[14:15], v[4:5], s[20:21], v[12:13]
	v_fma_f64 v[12:13], v[4:5], s[20:21], -v[12:13]
	v_fma_f64 v[78:79], v[4:5], s[14:15], v[76:77]
	v_fma_f64 v[76:77], v[4:5], s[14:15], -v[76:77]
	;; [unrolled: 2-line block ×6, first 2 shown]
	v_add_f64_e32 v[10:11], v[168:169], v[170:171]
	v_fma_f64 v[18:19], v[8:9], s[22:23], v[16:17]
	v_fma_f64 v[16:17], v[8:9], s[26:27], v[16:17]
	;; [unrolled: 1-line block ×12, first 2 shown]
	v_add_f64_e32 v[8:9], v[172:173], v[174:175]
	v_add_f64_e32 v[14:15], v[112:113], v[14:15]
	;; [unrolled: 1-line block ×13, first 2 shown]
	v_add_f64_e64 v[112:113], v[172:173], -v[174:175]
	v_add_f64_e32 v[18:19], v[114:115], v[18:19]
	v_add_f64_e32 v[16:17], v[114:115], v[16:17]
	;; [unrolled: 1-line block ×12, first 2 shown]
	v_add_f64_e64 v[114:115], v[168:169], -v[170:171]
	s_delay_alu instid0(VALU_DEP_1) | instskip(NEXT) | instid1(VALU_DEP_1)
	v_mul_f64_e32 v[168:169], s[10:11], v[114:115]
	v_fma_f64 v[170:171], v[8:9], s[14:15], v[168:169]
	v_fma_f64 v[168:169], v[8:9], s[14:15], -v[168:169]
	s_delay_alu instid0(VALU_DEP_2) | instskip(SKIP_1) | instid1(VALU_DEP_3)
	v_add_f64_e32 v[14:15], v[170:171], v[14:15]
	v_mul_f64_e32 v[170:171], s[14:15], v[10:11]
	v_add_f64_e32 v[12:13], v[168:169], v[12:13]
	s_delay_alu instid0(VALU_DEP_2) | instskip(SKIP_1) | instid1(VALU_DEP_2)
	v_fma_f64 v[168:169], v[112:113], s[10:11], v[170:171]
	v_fma_f64 v[172:173], v[112:113], s[16:17], v[170:171]
	v_add_f64_e32 v[16:17], v[168:169], v[16:17]
	v_mul_f64_e32 v[168:169], s[18:19], v[114:115]
	s_delay_alu instid0(VALU_DEP_3) | instskip(NEXT) | instid1(VALU_DEP_2)
	v_add_f64_e32 v[18:19], v[172:173], v[18:19]
	v_fma_f64 v[170:171], v[8:9], s[24:25], v[168:169]
	v_fma_f64 v[168:169], v[8:9], s[24:25], -v[168:169]
	s_delay_alu instid0(VALU_DEP_2) | instskip(SKIP_1) | instid1(VALU_DEP_3)
	v_add_f64_e32 v[78:79], v[170:171], v[78:79]
	v_mul_f64_e32 v[170:171], s[24:25], v[10:11]
	v_add_f64_e32 v[76:77], v[168:169], v[76:77]
	s_delay_alu instid0(VALU_DEP_2) | instskip(SKIP_2) | instid1(VALU_DEP_3)
	v_fma_f64 v[172:173], v[112:113], s[28:29], v[170:171]
	v_fma_f64 v[168:169], v[112:113], s[18:19], v[170:171]
	v_mul_f64_e32 v[170:171], s[38:39], v[114:115]
	v_add_f64_e32 v[172:173], v[172:173], v[178:179]
	s_delay_alu instid0(VALU_DEP_3) | instskip(NEXT) | instid1(VALU_DEP_3)
	v_add_f64_e32 v[168:169], v[168:169], v[176:177]
	v_fma_f64 v[174:175], v[8:9], s[40:41], v[170:171]
	v_fma_f64 v[170:171], v[8:9], s[40:41], -v[170:171]
	v_mul_f64_e32 v[176:177], s[40:41], v[10:11]
	s_delay_alu instid0(VALU_DEP_3) | instskip(NEXT) | instid1(VALU_DEP_3)
	v_add_f64_e32 v[174:175], v[174:175], v[182:183]
	v_add_f64_e32 v[170:171], v[170:171], v[180:181]
	v_mul_f64_e32 v[180:181], s[36:37], v[114:115]
	s_delay_alu instid0(VALU_DEP_4) | instskip(SKIP_1) | instid1(VALU_DEP_3)
	v_fma_f64 v[178:179], v[112:113], s[42:43], v[176:177]
	v_fma_f64 v[176:177], v[112:113], s[38:39], v[176:177]
	;; [unrolled: 1-line block ×3, first 2 shown]
	v_fma_f64 v[180:181], v[8:9], s[34:35], -v[180:181]
	s_delay_alu instid0(VALU_DEP_3)
	v_add_f64_e32 v[176:177], v[176:177], v[184:185]
	v_mul_f64_e32 v[184:185], s[34:35], v[10:11]
	v_add_f64_e32 v[178:179], v[178:179], v[186:187]
	v_add_f64_e32 v[182:183], v[182:183], v[190:191]
	;; [unrolled: 1-line block ×3, first 2 shown]
	v_mul_f64_e32 v[188:189], s[0:1], v[114:115]
	v_fma_f64 v[186:187], v[112:113], s[30:31], v[184:185]
	v_fma_f64 v[184:185], v[112:113], s[36:37], v[184:185]
	v_mul_f64_e32 v[114:115], s[22:23], v[114:115]
	s_delay_alu instid0(VALU_DEP_4) | instskip(SKIP_1) | instid1(VALU_DEP_4)
	v_fma_f64 v[190:191], v[8:9], s[2:3], v[188:189]
	v_fma_f64 v[188:189], v[8:9], s[2:3], -v[188:189]
	v_add_f64_e32 v[184:185], v[184:185], v[192:193]
	v_mul_f64_e32 v[192:193], s[2:3], v[10:11]
	v_mul_f64_e32 v[10:11], s[20:21], v[10:11]
	v_add_f64_e32 v[186:187], v[186:187], v[194:195]
	v_add_f64_e32 v[190:191], v[190:191], v[198:199]
	;; [unrolled: 1-line block ×3, first 2 shown]
	v_fma_f64 v[196:197], v[8:9], s[20:21], v[114:115]
	v_fma_f64 v[8:9], v[8:9], s[20:21], -v[114:115]
	v_add_f64_e64 v[114:115], v[160:161], -v[162:163]
	v_fma_f64 v[198:199], v[112:113], s[26:27], v[10:11]
	v_fma_f64 v[194:195], v[112:113], s[8:9], v[192:193]
	;; [unrolled: 1-line block ×3, first 2 shown]
	v_add_f64_e32 v[196:197], v[196:197], v[204:205]
	v_add_f64_e32 v[4:5], v[8:9], v[4:5]
	v_fma_f64 v[8:9], v[112:113], s[22:23], v[10:11]
	v_add_f64_e32 v[10:11], v[160:161], v[162:163]
	v_mul_f64_e32 v[160:161], s[8:9], v[114:115]
	v_add_f64_e64 v[112:113], v[164:165], -v[166:167]
	v_add_f64_e32 v[192:193], v[192:193], v[200:201]
	v_add_f64_e32 v[194:195], v[194:195], v[202:203]
	;; [unrolled: 1-line block ×5, first 2 shown]
	s_delay_alu instid0(VALU_DEP_1) | instskip(SKIP_1) | instid1(VALU_DEP_2)
	v_fma_f64 v[162:163], v[8:9], s[2:3], v[160:161]
	v_fma_f64 v[160:161], v[8:9], s[2:3], -v[160:161]
	v_add_f64_e32 v[14:15], v[162:163], v[14:15]
	v_mul_f64_e32 v[162:163], s[2:3], v[10:11]
	s_delay_alu instid0(VALU_DEP_3) | instskip(NEXT) | instid1(VALU_DEP_2)
	v_add_f64_e32 v[12:13], v[160:161], v[12:13]
	v_fma_f64 v[160:161], v[112:113], s[8:9], v[162:163]
	v_fma_f64 v[164:165], v[112:113], s[0:1], v[162:163]
	s_delay_alu instid0(VALU_DEP_2) | instskip(SKIP_1) | instid1(VALU_DEP_3)
	v_add_f64_e32 v[16:17], v[160:161], v[16:17]
	v_mul_f64_e32 v[160:161], s[38:39], v[114:115]
	v_add_f64_e32 v[18:19], v[164:165], v[18:19]
	s_delay_alu instid0(VALU_DEP_2) | instskip(SKIP_1) | instid1(VALU_DEP_2)
	v_fma_f64 v[162:163], v[8:9], s[40:41], v[160:161]
	v_fma_f64 v[160:161], v[8:9], s[40:41], -v[160:161]
	v_add_f64_e32 v[78:79], v[162:163], v[78:79]
	v_mul_f64_e32 v[162:163], s[40:41], v[10:11]
	s_delay_alu instid0(VALU_DEP_3) | instskip(NEXT) | instid1(VALU_DEP_2)
	v_add_f64_e32 v[76:77], v[160:161], v[76:77]
	v_fma_f64 v[164:165], v[112:113], s[42:43], v[162:163]
	v_fma_f64 v[160:161], v[112:113], s[38:39], v[162:163]
	v_mul_f64_e32 v[162:163], s[28:29], v[114:115]
	s_delay_alu instid0(VALU_DEP_3) | instskip(NEXT) | instid1(VALU_DEP_3)
	v_add_f64_e32 v[164:165], v[164:165], v[172:173]
	v_add_f64_e32 v[160:161], v[160:161], v[168:169]
	s_delay_alu instid0(VALU_DEP_3) | instskip(SKIP_2) | instid1(VALU_DEP_3)
	v_fma_f64 v[166:167], v[8:9], s[24:25], v[162:163]
	v_fma_f64 v[162:163], v[8:9], s[24:25], -v[162:163]
	v_mul_f64_e32 v[168:169], s[24:25], v[10:11]
	v_add_f64_e32 v[166:167], v[166:167], v[174:175]
	s_delay_alu instid0(VALU_DEP_3) | instskip(SKIP_1) | instid1(VALU_DEP_4)
	v_add_f64_e32 v[162:163], v[162:163], v[170:171]
	v_mul_f64_e32 v[170:171], s[22:23], v[114:115]
	v_fma_f64 v[172:173], v[112:113], s[18:19], v[168:169]
	v_fma_f64 v[168:169], v[112:113], s[28:29], v[168:169]
	s_delay_alu instid0(VALU_DEP_3) | instskip(SKIP_1) | instid1(VALU_DEP_3)
	v_fma_f64 v[174:175], v[8:9], s[20:21], v[170:171]
	v_fma_f64 v[170:171], v[8:9], s[20:21], -v[170:171]
	v_add_f64_e32 v[168:169], v[168:169], v[176:177]
	v_mul_f64_e32 v[176:177], s[20:21], v[10:11]
	v_add_f64_e32 v[172:173], v[172:173], v[178:179]
	v_add_f64_e32 v[174:175], v[174:175], v[182:183]
	;; [unrolled: 1-line block ×3, first 2 shown]
	v_mul_f64_e32 v[180:181], s[10:11], v[114:115]
	v_fma_f64 v[178:179], v[112:113], s[26:27], v[176:177]
	v_fma_f64 v[176:177], v[112:113], s[22:23], v[176:177]
	v_mul_f64_e32 v[114:115], s[30:31], v[114:115]
	s_delay_alu instid0(VALU_DEP_4) | instskip(SKIP_1) | instid1(VALU_DEP_4)
	v_fma_f64 v[182:183], v[8:9], s[14:15], v[180:181]
	v_fma_f64 v[180:181], v[8:9], s[14:15], -v[180:181]
	v_add_f64_e32 v[176:177], v[176:177], v[184:185]
	v_mul_f64_e32 v[184:185], s[14:15], v[10:11]
	v_mul_f64_e32 v[10:11], s[34:35], v[10:11]
	v_add_f64_e32 v[178:179], v[178:179], v[186:187]
	v_add_f64_e32 v[182:183], v[182:183], v[190:191]
	;; [unrolled: 1-line block ×3, first 2 shown]
	v_fma_f64 v[188:189], v[8:9], s[34:35], v[114:115]
	v_fma_f64 v[8:9], v[8:9], s[34:35], -v[114:115]
	v_fma_f64 v[190:191], v[112:113], s[36:37], v[10:11]
	v_fma_f64 v[186:187], v[112:113], s[16:17], v[184:185]
	;; [unrolled: 1-line block ×3, first 2 shown]
	v_add_f64_e32 v[188:189], v[188:189], v[196:197]
	v_add_f64_e32 v[4:5], v[8:9], v[4:5]
	v_fma_f64 v[8:9], v[112:113], s[30:31], v[10:11]
	v_add_f64_e32 v[10:11], v[100:101], v[102:103]
	v_add_f64_e64 v[100:101], v[100:101], -v[102:103]
	v_add_f64_e64 v[112:113], v[156:157], -v[158:159]
	v_add_f64_e32 v[184:185], v[184:185], v[192:193]
	v_add_f64_e32 v[186:187], v[186:187], v[194:195]
	;; [unrolled: 1-line block ×5, first 2 shown]
	v_mul_f64_e32 v[102:103], s[18:19], v[100:101]
	s_delay_alu instid0(VALU_DEP_1) | instskip(SKIP_1) | instid1(VALU_DEP_2)
	v_fma_f64 v[114:115], v[8:9], s[24:25], v[102:103]
	v_fma_f64 v[102:103], v[8:9], s[24:25], -v[102:103]
	v_add_f64_e32 v[14:15], v[114:115], v[14:15]
	v_mul_f64_e32 v[114:115], s[24:25], v[10:11]
	s_delay_alu instid0(VALU_DEP_3) | instskip(NEXT) | instid1(VALU_DEP_2)
	v_add_f64_e32 v[12:13], v[102:103], v[12:13]
	v_fma_f64 v[102:103], v[112:113], s[18:19], v[114:115]
	v_fma_f64 v[156:157], v[112:113], s[28:29], v[114:115]
	s_delay_alu instid0(VALU_DEP_2) | instskip(SKIP_1) | instid1(VALU_DEP_3)
	v_add_f64_e32 v[16:17], v[102:103], v[16:17]
	v_mul_f64_e32 v[102:103], s[36:37], v[100:101]
	v_add_f64_e32 v[18:19], v[156:157], v[18:19]
	s_delay_alu instid0(VALU_DEP_2) | instskip(SKIP_1) | instid1(VALU_DEP_2)
	v_fma_f64 v[114:115], v[8:9], s[34:35], v[102:103]
	v_fma_f64 v[102:103], v[8:9], s[34:35], -v[102:103]
	v_add_f64_e32 v[78:79], v[114:115], v[78:79]
	v_mul_f64_e32 v[114:115], s[34:35], v[10:11]
	s_delay_alu instid0(VALU_DEP_3) | instskip(NEXT) | instid1(VALU_DEP_2)
	v_add_f64_e32 v[76:77], v[102:103], v[76:77]
	v_fma_f64 v[156:157], v[112:113], s[30:31], v[114:115]
	v_fma_f64 v[102:103], v[112:113], s[36:37], v[114:115]
	v_mul_f64_e32 v[114:115], s[22:23], v[100:101]
	s_delay_alu instid0(VALU_DEP_3) | instskip(NEXT) | instid1(VALU_DEP_3)
	v_add_f64_e32 v[156:157], v[156:157], v[164:165]
	v_add_f64_e32 v[102:103], v[102:103], v[160:161]
	s_delay_alu instid0(VALU_DEP_3) | instskip(SKIP_2) | instid1(VALU_DEP_3)
	v_fma_f64 v[158:159], v[8:9], s[20:21], v[114:115]
	v_fma_f64 v[114:115], v[8:9], s[20:21], -v[114:115]
	v_mul_f64_e32 v[160:161], s[20:21], v[10:11]
	v_add_f64_e32 v[158:159], v[158:159], v[166:167]
	s_delay_alu instid0(VALU_DEP_3) | instskip(SKIP_1) | instid1(VALU_DEP_4)
	v_add_f64_e32 v[114:115], v[114:115], v[162:163]
	v_mul_f64_e32 v[162:163], s[8:9], v[100:101]
	v_fma_f64 v[164:165], v[112:113], s[26:27], v[160:161]
	v_fma_f64 v[160:161], v[112:113], s[22:23], v[160:161]
	s_delay_alu instid0(VALU_DEP_3) | instskip(SKIP_1) | instid1(VALU_DEP_3)
	v_fma_f64 v[166:167], v[8:9], s[2:3], v[162:163]
	v_fma_f64 v[162:163], v[8:9], s[2:3], -v[162:163]
	v_add_f64_e32 v[160:161], v[160:161], v[168:169]
	v_mul_f64_e32 v[168:169], s[2:3], v[10:11]
	v_add_f64_e32 v[164:165], v[164:165], v[172:173]
	v_add_f64_e32 v[166:167], v[166:167], v[174:175]
	;; [unrolled: 1-line block ×3, first 2 shown]
	v_mul_f64_e32 v[170:171], s[42:43], v[100:101]
	v_fma_f64 v[172:173], v[112:113], s[0:1], v[168:169]
	v_fma_f64 v[168:169], v[112:113], s[8:9], v[168:169]
	v_mul_f64_e32 v[100:101], s[16:17], v[100:101]
	s_delay_alu instid0(VALU_DEP_4) | instskip(SKIP_1) | instid1(VALU_DEP_4)
	v_fma_f64 v[174:175], v[8:9], s[40:41], v[170:171]
	v_fma_f64 v[170:171], v[8:9], s[40:41], -v[170:171]
	v_add_f64_e32 v[168:169], v[168:169], v[176:177]
	v_mul_f64_e32 v[176:177], s[40:41], v[10:11]
	v_mul_f64_e32 v[10:11], s[14:15], v[10:11]
	v_add_f64_e32 v[172:173], v[172:173], v[178:179]
	v_add_f64_e32 v[174:175], v[174:175], v[182:183]
	;; [unrolled: 1-line block ×3, first 2 shown]
	v_fma_f64 v[180:181], v[8:9], s[14:15], v[100:101]
	v_fma_f64 v[8:9], v[8:9], s[14:15], -v[100:101]
	v_fma_f64 v[182:183], v[112:113], s[10:11], v[10:11]
	v_fma_f64 v[178:179], v[112:113], s[38:39], v[176:177]
	;; [unrolled: 1-line block ×3, first 2 shown]
	v_add_f64_e32 v[180:181], v[180:181], v[188:189]
	v_add_f64_e32 v[4:5], v[8:9], v[4:5]
	v_fma_f64 v[8:9], v[112:113], s[16:17], v[10:11]
	v_add_f64_e32 v[10:11], v[92:93], v[94:95]
	v_add_f64_e64 v[92:93], v[92:93], -v[94:95]
	v_add_f64_e32 v[176:177], v[176:177], v[184:185]
	v_add_f64_e32 v[178:179], v[178:179], v[186:187]
	v_add_f64_e64 v[186:187], v[80:81], -v[82:83]
	v_add_f64_e32 v[182:183], v[182:183], v[190:191]
	v_add_f64_e32 v[6:7], v[8:9], v[6:7]
	;; [unrolled: 1-line block ×3, first 2 shown]
	v_mul_f64_e32 v[94:95], s[30:31], v[92:93]
	v_add_f64_e64 v[96:97], v[96:97], -v[98:99]
	s_delay_alu instid0(VALU_DEP_2) | instskip(SKIP_1) | instid1(VALU_DEP_2)
	v_fma_f64 v[98:99], v[8:9], s[34:35], v[94:95]
	v_fma_f64 v[94:95], v[8:9], s[34:35], -v[94:95]
	v_add_f64_e32 v[14:15], v[98:99], v[14:15]
	v_mul_f64_e32 v[98:99], s[34:35], v[10:11]
	s_delay_alu instid0(VALU_DEP_3) | instskip(NEXT) | instid1(VALU_DEP_2)
	v_add_f64_e32 v[12:13], v[94:95], v[12:13]
	v_fma_f64 v[94:95], v[96:97], s[30:31], v[98:99]
	v_fma_f64 v[100:101], v[96:97], s[36:37], v[98:99]
	s_delay_alu instid0(VALU_DEP_2) | instskip(SKIP_1) | instid1(VALU_DEP_3)
	v_add_f64_e32 v[16:17], v[94:95], v[16:17]
	v_mul_f64_e32 v[94:95], s[0:1], v[92:93]
	v_add_f64_e32 v[18:19], v[100:101], v[18:19]
	s_delay_alu instid0(VALU_DEP_2) | instskip(SKIP_1) | instid1(VALU_DEP_2)
	v_fma_f64 v[98:99], v[8:9], s[2:3], v[94:95]
	v_fma_f64 v[94:95], v[8:9], s[2:3], -v[94:95]
	v_add_f64_e32 v[112:113], v[98:99], v[78:79]
	v_mul_f64_e32 v[78:79], s[2:3], v[10:11]
	s_delay_alu instid0(VALU_DEP_3) | instskip(NEXT) | instid1(VALU_DEP_2)
	v_add_f64_e32 v[184:185], v[94:95], v[76:77]
	v_fma_f64 v[76:77], v[96:97], s[0:1], v[78:79]
	v_fma_f64 v[98:99], v[96:97], s[8:9], v[78:79]
	s_delay_alu instid0(VALU_DEP_2) | instskip(SKIP_1) | instid1(VALU_DEP_3)
	v_add_f64_e32 v[102:103], v[76:77], v[102:103]
	v_mul_f64_e32 v[76:77], s[10:11], v[92:93]
	v_add_f64_e32 v[156:157], v[98:99], v[156:157]
	v_add_f64_e32 v[98:99], v[88:89], v[90:91]
	s_delay_alu instid0(VALU_DEP_3) | instskip(SKIP_1) | instid1(VALU_DEP_2)
	v_fma_f64 v[78:79], v[8:9], s[14:15], v[76:77]
	v_fma_f64 v[76:77], v[8:9], s[14:15], -v[76:77]
	v_add_f64_e32 v[158:159], v[78:79], v[158:159]
	v_mul_f64_e32 v[78:79], s[14:15], v[10:11]
	s_delay_alu instid0(VALU_DEP_3) | instskip(NEXT) | instid1(VALU_DEP_2)
	v_add_f64_e32 v[114:115], v[76:77], v[114:115]
	v_fma_f64 v[76:77], v[96:97], s[10:11], v[78:79]
	v_fma_f64 v[94:95], v[96:97], s[16:17], v[78:79]
	s_delay_alu instid0(VALU_DEP_2) | instskip(SKIP_1) | instid1(VALU_DEP_3)
	v_add_f64_e32 v[160:161], v[76:77], v[160:161]
	v_mul_f64_e32 v[76:77], s[42:43], v[92:93]
	v_add_f64_e32 v[164:165], v[94:95], v[164:165]
	s_delay_alu instid0(VALU_DEP_2) | instskip(SKIP_1) | instid1(VALU_DEP_2)
	v_fma_f64 v[78:79], v[8:9], s[40:41], v[76:77]
	v_fma_f64 v[76:77], v[8:9], s[40:41], -v[76:77]
	v_add_f64_e32 v[166:167], v[78:79], v[166:167]
	v_mul_f64_e32 v[78:79], s[40:41], v[10:11]
	s_delay_alu instid0(VALU_DEP_3) | instskip(NEXT) | instid1(VALU_DEP_2)
	v_add_f64_e32 v[162:163], v[76:77], v[162:163]
	v_fma_f64 v[76:77], v[96:97], s[42:43], v[78:79]
	v_fma_f64 v[94:95], v[96:97], s[38:39], v[78:79]
	s_delay_alu instid0(VALU_DEP_2) | instskip(SKIP_1) | instid1(VALU_DEP_3)
	v_add_f64_e32 v[168:169], v[76:77], v[168:169]
	v_mul_f64_e32 v[76:77], s[22:23], v[92:93]
	v_add_f64_e32 v[172:173], v[94:95], v[172:173]
	s_delay_alu instid0(VALU_DEP_2) | instskip(SKIP_1) | instid1(VALU_DEP_2)
	v_fma_f64 v[78:79], v[8:9], s[20:21], v[76:77]
	v_fma_f64 v[76:77], v[8:9], s[20:21], -v[76:77]
	v_add_f64_e32 v[174:175], v[78:79], v[174:175]
	v_mul_f64_e32 v[78:79], s[20:21], v[10:11]
	s_delay_alu instid0(VALU_DEP_3) | instskip(SKIP_1) | instid1(VALU_DEP_3)
	v_add_f64_e32 v[170:171], v[76:77], v[170:171]
	v_mul_f64_e32 v[10:11], s[24:25], v[10:11]
	v_fma_f64 v[76:77], v[96:97], s[22:23], v[78:79]
	v_fma_f64 v[94:95], v[96:97], s[26:27], v[78:79]
	s_delay_alu instid0(VALU_DEP_2) | instskip(SKIP_1) | instid1(VALU_DEP_3)
	v_add_f64_e32 v[176:177], v[76:77], v[176:177]
	v_mul_f64_e32 v[76:77], s[18:19], v[92:93]
	v_add_f64_e32 v[178:179], v[94:95], v[178:179]
	s_delay_alu instid0(VALU_DEP_2) | instskip(SKIP_1) | instid1(VALU_DEP_2)
	v_fma_f64 v[78:79], v[8:9], s[24:25], v[76:77]
	v_fma_f64 v[8:9], v[8:9], s[24:25], -v[76:77]
	v_add_f64_e32 v[180:181], v[78:79], v[180:181]
	s_delay_alu instid0(VALU_DEP_2) | instskip(SKIP_3) | instid1(VALU_DEP_3)
	v_add_f64_e32 v[94:95], v[8:9], v[4:5]
	v_fma_f64 v[4:5], v[96:97], s[18:19], v[10:11]
	v_fma_f64 v[78:79], v[96:97], s[28:29], v[10:11]
	v_add_f64_e64 v[96:97], v[88:89], -v[90:91]
	v_add_f64_e32 v[92:93], v[4:5], v[6:7]
	v_mul_f64_e32 v[4:5], s[38:39], v[186:187]
	s_delay_alu instid0(VALU_DEP_4) | instskip(SKIP_1) | instid1(VALU_DEP_3)
	v_add_f64_e32 v[100:101], v[78:79], v[182:183]
	v_add_f64_e32 v[182:183], v[80:81], v[82:83]
	v_fma_f64 v[6:7], v[98:99], s[40:41], v[4:5]
	v_fma_f64 v[4:5], v[98:99], s[40:41], -v[4:5]
	s_delay_alu instid0(VALU_DEP_3) | instskip(NEXT) | instid1(VALU_DEP_3)
	v_mul_f64_e32 v[10:11], s[20:21], v[182:183]
	v_add_f64_e32 v[88:89], v[6:7], v[14:15]
	v_mul_f64_e32 v[6:7], s[40:41], v[182:183]
	s_delay_alu instid0(VALU_DEP_4) | instskip(SKIP_2) | instid1(VALU_DEP_4)
	v_add_f64_e32 v[76:77], v[4:5], v[12:13]
	v_mul_f64_e32 v[12:13], s[30:31], v[186:187]
	v_mul_f64_e32 v[14:15], s[34:35], v[182:183]
	v_fma_f64 v[8:9], v[96:97], s[42:43], v[6:7]
	v_fma_f64 v[4:5], v[96:97], s[38:39], v[6:7]
	;; [unrolled: 1-line block ×3, first 2 shown]
	s_delay_alu instid0(VALU_DEP_3) | instskip(SKIP_1) | instid1(VALU_DEP_4)
	v_add_f64_e32 v[90:91], v[8:9], v[18:19]
	v_mul_f64_e32 v[8:9], s[22:23], v[186:187]
	v_add_f64_e32 v[78:79], v[4:5], v[16:17]
	s_delay_alu instid0(VALU_DEP_4) | instskip(NEXT) | instid1(VALU_DEP_3)
	v_add_f64_e32 v[6:7], v[6:7], v[156:157]
	v_fma_f64 v[4:5], v[98:99], s[20:21], v[8:9]
	v_fma_f64 v[8:9], v[98:99], s[20:21], -v[8:9]
	s_delay_alu instid0(VALU_DEP_2) | instskip(NEXT) | instid1(VALU_DEP_2)
	v_add_f64_e32 v[4:5], v[4:5], v[112:113]
	v_add_f64_e32 v[80:81], v[8:9], v[184:185]
	v_fma_f64 v[8:9], v[96:97], s[22:23], v[10:11]
	v_fma_f64 v[10:11], v[96:97], s[36:37], v[14:15]
	;; [unrolled: 1-line block ×3, first 2 shown]
	s_delay_alu instid0(VALU_DEP_3)
	v_add_f64_e32 v[82:83], v[8:9], v[102:103]
	v_fma_f64 v[8:9], v[98:99], s[34:35], v[12:13]
	v_fma_f64 v[12:13], v[98:99], s[34:35], -v[12:13]
	v_mul_f64_e32 v[102:103], s[16:17], v[186:187]
	v_add_f64_e32 v[14:15], v[14:15], v[160:161]
	v_add_f64_e32 v[10:11], v[10:11], v[164:165]
	;; [unrolled: 1-line block ×4, first 2 shown]
	v_fma_f64 v[16:17], v[98:99], s[14:15], v[102:103]
	v_mul_f64_e32 v[114:115], s[14:15], v[182:183]
	v_fma_f64 v[102:103], v[98:99], s[14:15], -v[102:103]
	s_delay_alu instid0(VALU_DEP_3) | instskip(NEXT) | instid1(VALU_DEP_3)
	v_add_f64_e32 v[16:17], v[16:17], v[166:167]
	v_fma_f64 v[18:19], v[96:97], s[10:11], v[114:115]
	s_delay_alu instid0(VALU_DEP_3) | instskip(SKIP_2) | instid1(VALU_DEP_4)
	v_add_f64_e32 v[112:113], v[102:103], v[162:163]
	v_fma_f64 v[102:103], v[96:97], s[16:17], v[114:115]
	v_mul_f64_e32 v[162:163], s[24:25], v[182:183]
	v_add_f64_e32 v[18:19], v[18:19], v[172:173]
	s_delay_alu instid0(VALU_DEP_3) | instskip(SKIP_1) | instid1(VALU_DEP_4)
	v_add_f64_e32 v[114:115], v[102:103], v[168:169]
	v_mul_f64_e32 v[102:103], s[18:19], v[186:187]
	v_fma_f64 v[158:159], v[96:97], s[28:29], v[162:163]
	v_mul_f64_e32 v[168:169], s[2:3], v[182:183]
	s_delay_alu instid0(VALU_DEP_3) | instskip(SKIP_1) | instid1(VALU_DEP_3)
	v_fma_f64 v[156:157], v[98:99], s[24:25], v[102:103]
	v_fma_f64 v[102:103], v[98:99], s[24:25], -v[102:103]
	v_fma_f64 v[166:167], v[96:97], s[8:9], v[168:169]
	v_add_f64_e32 v[158:159], v[158:159], v[178:179]
	s_delay_alu instid0(VALU_DEP_4) | instskip(NEXT) | instid1(VALU_DEP_4)
	v_add_f64_e32 v[156:157], v[156:157], v[174:175]
	v_add_f64_e32 v[160:161], v[102:103], v[170:171]
	v_fma_f64 v[102:103], v[96:97], s[18:19], v[162:163]
	v_fma_f64 v[96:97], v[96:97], s[0:1], v[168:169]
	v_add_f64_e32 v[166:167], v[166:167], v[100:101]
	s_delay_alu instid0(VALU_DEP_3) | instskip(SKIP_1) | instid1(VALU_DEP_4)
	v_add_f64_e32 v[162:163], v[102:103], v[176:177]
	v_mul_f64_e32 v[102:103], s[0:1], v[186:187]
	v_add_f64_e32 v[96:97], v[96:97], v[92:93]
	s_delay_alu instid0(VALU_DEP_2) | instskip(SKIP_1) | instid1(VALU_DEP_2)
	v_fma_f64 v[164:165], v[98:99], s[2:3], v[102:103]
	v_fma_f64 v[98:99], v[98:99], s[2:3], -v[102:103]
	v_add_f64_e32 v[164:165], v[164:165], v[180:181]
	s_delay_alu instid0(VALU_DEP_2)
	v_add_f64_e32 v[94:95], v[98:99], v[94:95]
	ds_store_b128 v237, v[0:3]
	ds_store_b128 v237, v[108:111] offset:416
	ds_store_b128 v237, v[120:123] offset:832
	;; [unrolled: 1-line block ×12, first 2 shown]
	ds_store_b128 v238, v[152:155]
	ds_store_b128 v238, v[88:91] offset:416
	ds_store_b128 v238, v[4:7] offset:832
	;; [unrolled: 1-line block ×12, first 2 shown]
	global_wb scope:SCOPE_SE
	s_wait_dscnt 0x0
	s_barrier_signal -1
	s_barrier_wait -1
	global_inv scope:SCOPE_SE
	ds_load_b128 v[100:103], v234
	ds_load_b128 v[172:175], v234 offset:5408
	ds_load_b128 v[168:171], v234 offset:10816
	;; [unrolled: 1-line block ×23, first 2 shown]
	s_and_saveexec_b32 s0, vcc_lo
	s_cbranch_execz .LBB0_9
; %bb.8:
	ds_load_b128 v[80:83], v234 offset:4992
	ds_load_b128 v[76:79], v234 offset:10400
	;; [unrolled: 1-line block ×3, first 2 shown]
	s_wait_dscnt 0x0
	scratch_store_b128 off, v[4:7], off     ; 16-byte Folded Spill
	ds_load_b128 v[4:7], v234 offset:21216
	s_wait_dscnt 0x0
	scratch_store_b128 off, v[4:7], off offset:16 ; 16-byte Folded Spill
.LBB0_9:
	s_wait_alu 0xfffe
	s_or_b32 exec_lo, exec_lo, s0
	s_clause 0x1
	scratch_load_b128 v[6:9], off, off offset:848 th:TH_LOAD_LU
	scratch_load_b128 v[12:15], off, off offset:880 th:TH_LOAD_LU
	s_wait_dscnt 0x10
	v_mul_f64_e32 v[18:19], v[26:27], v[152:153]
	s_delay_alu instid0(VALU_DEP_1) | instskip(SKIP_2) | instid1(VALU_DEP_1)
	v_fma_f64 v[18:19], v[24:25], v[154:155], -v[18:19]
	s_wait_loadcnt 0x1
	v_mul_f64_e32 v[4:5], v[8:9], v[174:175]
	v_fma_f64 v[176:177], v[6:7], v[172:173], v[4:5]
	v_mul_f64_e32 v[4:5], v[8:9], v[172:173]
	scratch_load_b128 v[8:11], off, off offset:864 th:TH_LOAD_LU ; 16-byte Folded Reload
	v_fma_f64 v[172:173], v[6:7], v[174:175], -v[4:5]
	s_wait_loadcnt 0x0
	v_mul_f64_e32 v[4:5], v[10:11], v[170:171]
	v_mul_f64_e32 v[6:7], v[10:11], v[168:169]
	;; [unrolled: 1-line block ×3, first 2 shown]
	s_delay_alu instid0(VALU_DEP_3) | instskip(NEXT) | instid1(VALU_DEP_3)
	v_fma_f64 v[4:5], v[8:9], v[168:169], v[4:5]
	v_fma_f64 v[6:7], v[8:9], v[170:171], -v[6:7]
	v_mul_f64_e32 v[8:9], v[14:15], v[158:159]
	scratch_load_b128 v[14:17], off, off offset:896 th:TH_LOAD_LU ; 16-byte Folded Reload
	v_fma_f64 v[10:11], v[12:13], v[158:159], -v[10:11]
	v_fma_f64 v[8:9], v[12:13], v[156:157], v[8:9]
	s_wait_loadcnt 0x0
	v_mul_f64_e32 v[12:13], v[16:17], v[166:167]
	s_delay_alu instid0(VALU_DEP_1) | instskip(SKIP_4) | instid1(VALU_DEP_3)
	v_fma_f64 v[156:157], v[14:15], v[164:165], v[12:13]
	v_mul_f64_e32 v[12:13], v[16:17], v[164:165]
	v_mul_f64_e32 v[16:17], v[26:27], v[154:155]
	s_wait_dscnt 0xc
	v_mul_f64_e32 v[26:27], v[38:39], v[132:133]
	v_fma_f64 v[158:159], v[14:15], v[166:167], -v[12:13]
	v_mul_f64_e32 v[12:13], v[22:23], v[162:163]
	v_mul_f64_e32 v[14:15], v[22:23], v[160:161]
	v_fma_f64 v[16:17], v[24:25], v[152:153], v[16:17]
	v_mul_f64_e32 v[22:23], v[34:35], v[144:145]
	v_mul_f64_e32 v[24:25], v[38:39], v[134:135]
	v_fma_f64 v[26:27], v[36:37], v[134:135], -v[26:27]
	s_wait_dscnt 0x8
	v_mul_f64_e32 v[38:39], v[50:51], v[130:131]
	v_fma_f64 v[12:13], v[20:21], v[160:161], v[12:13]
	v_fma_f64 v[14:15], v[20:21], v[162:163], -v[14:15]
	v_mul_f64_e32 v[20:21], v[30:31], v[150:151]
	v_fma_f64 v[22:23], v[32:33], v[146:147], -v[22:23]
	v_fma_f64 v[24:25], v[36:37], v[132:133], v[24:25]
	v_mul_f64_e32 v[36:37], v[46:47], v[136:137]
	v_fma_f64 v[38:39], v[48:49], v[128:129], v[38:39]
	v_add_f64_e64 v[12:13], v[96:97], -v[12:13]
	v_add_f64_e64 v[14:15], v[98:99], -v[14:15]
	v_fma_f64 v[152:153], v[28:29], v[148:149], v[20:21]
	v_mul_f64_e32 v[20:21], v[30:31], v[148:149]
	v_mul_f64_e32 v[30:31], v[42:43], v[142:143]
	v_fma_f64 v[36:37], v[44:45], v[138:139], -v[36:37]
	s_delay_alu instid0(VALU_DEP_3)
	v_fma_f64 v[28:29], v[28:29], v[150:151], -v[20:21]
	v_mul_f64_e32 v[20:21], v[34:35], v[146:147]
	v_mul_f64_e32 v[34:35], v[46:47], v[138:139]
	v_fma_f64 v[30:31], v[40:41], v[140:141], v[30:31]
	s_wait_dscnt 0x5
	v_mul_f64_e32 v[46:47], v[58:59], v[122:123]
	s_delay_alu instid0(VALU_DEP_4)
	v_fma_f64 v[20:21], v[32:33], v[144:145], v[20:21]
	v_mul_f64_e32 v[32:33], v[42:43], v[140:141]
	v_fma_f64 v[34:35], v[44:45], v[136:137], v[34:35]
	v_mul_f64_e32 v[42:43], v[54:55], v[126:127]
	v_mul_f64_e32 v[44:45], v[54:55], v[124:125]
	v_fma_f64 v[46:47], v[56:57], v[120:121], v[46:47]
	s_wait_dscnt 0x2
	v_mul_f64_e32 v[54:55], v[66:67], v[118:119]
	v_fma_f64 v[32:33], v[40:41], v[142:143], -v[32:33]
	v_mul_f64_e32 v[40:41], v[50:51], v[128:129]
	v_fma_f64 v[42:43], v[52:53], v[124:125], v[42:43]
	v_fma_f64 v[44:45], v[52:53], v[126:127], -v[44:45]
	v_mul_f64_e32 v[50:51], v[62:63], v[110:111]
	v_mul_f64_e32 v[52:53], v[62:63], v[108:109]
	v_fma_f64 v[54:55], v[64:65], v[116:117], v[54:55]
	s_wait_dscnt 0x0
	v_mul_f64_e32 v[62:63], v[74:75], v[106:107]
	v_fma_f64 v[40:41], v[48:49], v[130:131], -v[40:41]
	v_mul_f64_e32 v[48:49], v[58:59], v[120:121]
	v_mul_f64_e32 v[58:59], v[70:71], v[114:115]
	v_fma_f64 v[50:51], v[60:61], v[108:109], v[50:51]
	v_fma_f64 v[52:53], v[60:61], v[110:111], -v[52:53]
	v_mul_f64_e32 v[60:61], v[70:71], v[112:113]
	v_fma_f64 v[62:63], v[72:73], v[104:105], v[62:63]
	v_fma_f64 v[48:49], v[56:57], v[122:123], -v[48:49]
	v_mul_f64_e32 v[56:57], v[66:67], v[116:117]
	v_add_f64_e64 v[66:67], v[100:101], -v[4:5]
	v_fma_f64 v[58:59], v[68:69], v[112:113], v[58:59]
	v_fma_f64 v[60:61], v[68:69], v[114:115], -v[60:61]
	v_add_f64_e64 v[68:69], v[102:103], -v[6:7]
	v_fma_f64 v[56:57], v[64:65], v[118:119], -v[56:57]
	v_mul_f64_e32 v[64:65], v[74:75], v[104:105]
	v_fma_f64 v[70:71], v[100:101], 2.0, -v[66:67]
	v_add_f64_e64 v[74:75], v[172:173], -v[10:11]
	v_add_f64_e64 v[100:101], v[176:177], -v[8:9]
	v_add_f64_e64 v[104:105], v[152:153], -v[24:25]
	v_add_f64_e64 v[24:25], v[84:85], -v[46:47]
	v_fma_f64 v[64:65], v[72:73], v[106:107], -v[64:65]
	v_fma_f64 v[72:73], v[102:103], 2.0, -v[68:69]
	v_add_f64_e32 v[4:5], v[66:67], v[74:75]
	v_add_f64_e64 v[6:7], v[68:69], -v[100:101]
	v_add_f64_e64 v[102:103], v[28:29], -v[26:27]
	;; [unrolled: 1-line block ×3, first 2 shown]
	v_fma_f64 v[84:85], v[84:85], 2.0, -v[24:25]
	v_fma_f64 v[8:9], v[66:67], 2.0, -v[4:5]
	;; [unrolled: 1-line block ×5, first 2 shown]
	v_add_f64_e64 v[96:97], v[158:159], -v[18:19]
	v_add_f64_e64 v[98:99], v[156:157], -v[16:17]
	ds_store_b128 v234, v[4:7] offset:16224
	v_add_f64_e64 v[16:17], v[92:93], -v[20:21]
	v_add_f64_e64 v[18:19], v[94:95], -v[22:23]
	;; [unrolled: 1-line block ×8, first 2 shown]
	v_fma_f64 v[86:87], v[86:87], 2.0, -v[26:27]
	v_add_f64_e32 v[4:5], v[12:13], v[96:97]
	v_add_f64_e64 v[6:7], v[14:15], -v[98:99]
	v_fma_f64 v[92:93], v[92:93], 2.0, -v[16:17]
	v_fma_f64 v[94:95], v[94:95], 2.0, -v[18:19]
	v_fma_f64 v[88:89], v[88:89], 2.0, -v[20:21]
	v_fma_f64 v[90:91], v[90:91], 2.0, -v[22:23]
	v_fma_f64 v[12:13], v[12:13], 2.0, -v[4:5]
	v_fma_f64 v[14:15], v[14:15], 2.0, -v[6:7]
	ds_store_b128 v234, v[4:7] offset:17056
	v_add_f64_e32 v[4:5], v[16:17], v[102:103]
	v_add_f64_e64 v[6:7], v[18:19], -v[104:105]
	s_delay_alu instid0(VALU_DEP_2) | instskip(NEXT) | instid1(VALU_DEP_2)
	v_fma_f64 v[16:17], v[16:17], 2.0, -v[4:5]
	v_fma_f64 v[18:19], v[18:19], 2.0, -v[6:7]
	ds_store_b128 v234, v[4:7] offset:17888
	v_add_f64_e32 v[4:5], v[20:21], v[34:35]
	v_add_f64_e64 v[6:7], v[22:23], -v[36:37]
	s_delay_alu instid0(VALU_DEP_2) | instskip(NEXT) | instid1(VALU_DEP_2)
	v_fma_f64 v[20:21], v[20:21], 2.0, -v[4:5]
	v_fma_f64 v[22:23], v[22:23], 2.0, -v[6:7]
	ds_store_b128 v234, v[4:7] offset:18720
	v_add_f64_e32 v[4:5], v[24:25], v[38:39]
	v_add_f64_e64 v[6:7], v[26:27], -v[40:41]
	ds_store_b128 v234, v[4:7] offset:19552
	ds_store_b128 v234, v[8:11] offset:5408
	;; [unrolled: 1-line block ×3, first 2 shown]
	v_fma_f64 v[24:25], v[24:25], 2.0, -v[4:5]
	v_fma_f64 v[26:27], v[26:27], 2.0, -v[6:7]
	;; [unrolled: 1-line block ×4, first 2 shown]
	s_delay_alu instid0(VALU_DEP_2) | instskip(NEXT) | instid1(VALU_DEP_2)
	v_add_f64_e64 v[4:5], v[70:71], -v[4:5]
	v_add_f64_e64 v[6:7], v[72:73], -v[6:7]
	s_delay_alu instid0(VALU_DEP_2) | instskip(NEXT) | instid1(VALU_DEP_2)
	v_fma_f64 v[8:9], v[70:71], 2.0, -v[4:5]
	v_fma_f64 v[10:11], v[72:73], 2.0, -v[6:7]
	ds_store_b128 v234, v[4:7] offset:10816
	v_fma_f64 v[4:5], v[156:157], 2.0, -v[98:99]
	v_fma_f64 v[6:7], v[158:159], 2.0, -v[96:97]
	s_delay_alu instid0(VALU_DEP_2) | instskip(NEXT) | instid1(VALU_DEP_2)
	v_add_f64_e64 v[4:5], v[66:67], -v[4:5]
	v_add_f64_e64 v[6:7], v[68:69], -v[6:7]
	s_delay_alu instid0(VALU_DEP_2) | instskip(NEXT) | instid1(VALU_DEP_2)
	v_fma_f64 v[12:13], v[66:67], 2.0, -v[4:5]
	v_fma_f64 v[14:15], v[68:69], 2.0, -v[6:7]
	ds_store_b128 v234, v[4:7] offset:11648
	v_fma_f64 v[6:7], v[28:29], 2.0, -v[102:103]
	v_fma_f64 v[28:29], v[30:31], 2.0, -v[36:37]
	;; [unrolled: 1-line block ×4, first 2 shown]
	v_add_f64_e64 v[40:41], v[0:1], -v[58:59]
	v_add_f64_e64 v[42:43], v[2:3], -v[60:61]
	v_fma_f64 v[4:5], v[152:153], 2.0, -v[104:105]
	v_fma_f64 v[34:35], v[44:45], 2.0, -v[38:39]
	v_add_f64_e64 v[6:7], v[94:95], -v[6:7]
	v_add_f64_e64 v[28:29], v[88:89], -v[28:29]
	;; [unrolled: 1-line block ×4, first 2 shown]
	v_fma_f64 v[58:59], v[0:1], 2.0, -v[40:41]
	v_fma_f64 v[60:61], v[2:3], 2.0, -v[42:43]
	v_add_f64_e64 v[2:3], v[54:55], -v[62:63]
	v_add_f64_e64 v[0:1], v[56:57], -v[64:65]
	;; [unrolled: 1-line block ×4, first 2 shown]
	v_fma_f64 v[46:47], v[94:95], 2.0, -v[6:7]
	v_fma_f64 v[48:49], v[88:89], 2.0, -v[28:29]
	;; [unrolled: 1-line block ×6, first 2 shown]
	v_add_f64_e32 v[0:1], v[40:41], v[0:1]
	v_add_f64_e64 v[2:3], v[42:43], -v[2:3]
	v_fma_f64 v[44:45], v[92:93], 2.0, -v[4:5]
	v_fma_f64 v[54:55], v[86:87], 2.0, -v[34:35]
	v_add_f64_e64 v[36:37], v[58:59], -v[36:37]
	v_add_f64_e64 v[38:39], v[60:61], -v[38:39]
	v_fma_f64 v[40:41], v[40:41], 2.0, -v[0:1]
	v_fma_f64 v[42:43], v[42:43], 2.0, -v[2:3]
	s_delay_alu instid0(VALU_DEP_4) | instskip(NEXT) | instid1(VALU_DEP_4)
	v_fma_f64 v[56:57], v[58:59], 2.0, -v[36:37]
	v_fma_f64 v[58:59], v[60:61], 2.0, -v[38:39]
	ds_store_b128 v234, v[16:19] offset:7072
	ds_store_b128 v234, v[20:23] offset:7904
	;; [unrolled: 1-line block ×8, first 2 shown]
	ds_store_b128 v234, v[8:11]
	ds_store_b128 v234, v[12:15] offset:832
	ds_store_b128 v234, v[44:47] offset:1664
	;; [unrolled: 1-line block ×6, first 2 shown]
	s_and_saveexec_b32 s0, vcc_lo
	s_cbranch_execz .LBB0_11
; %bb.10:
	s_clause 0x4
	scratch_load_b128 v[16:19], off, off offset:928 th:TH_LOAD_LU
	scratch_load_b128 v[24:27], off, off th:TH_LOAD_LU
	scratch_load_b128 v[12:15], off, off offset:912 th:TH_LOAD_LU
	scratch_load_b128 v[20:23], off, off offset:944 th:TH_LOAD_LU
	;; [unrolled: 1-line block ×3, first 2 shown]
	s_wait_loadcnt 0x3
	v_mul_f64_e32 v[0:1], v[18:19], v[24:25]
	s_wait_loadcnt 0x2
	v_mul_f64_e32 v[2:3], v[14:15], v[78:79]
	v_mul_f64_e32 v[4:5], v[14:15], v[76:77]
	s_wait_loadcnt 0x0
	v_mul_f64_e32 v[6:7], v[22:23], v[28:29]
	v_mul_f64_e32 v[8:9], v[18:19], v[26:27]
	;; [unrolled: 1-line block ×3, first 2 shown]
	v_fma_f64 v[0:1], v[16:17], v[26:27], -v[0:1]
	v_fma_f64 v[2:3], v[12:13], v[76:77], v[2:3]
	v_fma_f64 v[4:5], v[12:13], v[78:79], -v[4:5]
	v_fma_f64 v[6:7], v[20:21], v[30:31], -v[6:7]
	v_fma_f64 v[8:9], v[16:17], v[24:25], v[8:9]
	v_fma_f64 v[10:11], v[20:21], v[28:29], v[10:11]
	v_add_f64_e64 v[12:13], v[82:83], -v[0:1]
	s_delay_alu instid0(VALU_DEP_4) | instskip(NEXT) | instid1(VALU_DEP_4)
	v_add_f64_e64 v[0:1], v[4:5], -v[6:7]
	v_add_f64_e64 v[8:9], v[80:81], -v[8:9]
	s_delay_alu instid0(VALU_DEP_4) | instskip(NEXT) | instid1(VALU_DEP_4)
	v_add_f64_e64 v[6:7], v[2:3], -v[10:11]
	v_fma_f64 v[14:15], v[82:83], 2.0, -v[12:13]
	s_delay_alu instid0(VALU_DEP_4) | instskip(NEXT) | instid1(VALU_DEP_4)
	v_fma_f64 v[4:5], v[4:5], 2.0, -v[0:1]
	v_fma_f64 v[16:17], v[80:81], 2.0, -v[8:9]
	s_delay_alu instid0(VALU_DEP_4) | instskip(SKIP_3) | instid1(VALU_DEP_4)
	v_fma_f64 v[10:11], v[2:3], 2.0, -v[6:7]
	v_add_f64_e64 v[2:3], v[12:13], -v[6:7]
	v_add_f64_e32 v[0:1], v[8:9], v[0:1]
	v_add_f64_e64 v[6:7], v[14:15], -v[4:5]
	v_add_f64_e64 v[4:5], v[16:17], -v[10:11]
	s_delay_alu instid0(VALU_DEP_4) | instskip(NEXT) | instid1(VALU_DEP_4)
	v_fma_f64 v[10:11], v[12:13], 2.0, -v[2:3]
	v_fma_f64 v[8:9], v[8:9], 2.0, -v[0:1]
	s_delay_alu instid0(VALU_DEP_4) | instskip(NEXT) | instid1(VALU_DEP_4)
	v_fma_f64 v[14:15], v[14:15], 2.0, -v[6:7]
	v_fma_f64 v[12:13], v[16:17], 2.0, -v[4:5]
	ds_store_b128 v234, v[12:15] offset:4992
	ds_store_b128 v234, v[8:11] offset:10400
	;; [unrolled: 1-line block ×4, first 2 shown]
.LBB0_11:
	s_wait_alu 0xfffe
	s_or_b32 exec_lo, exec_lo, s0
	global_wb scope:SCOPE_SE
	s_wait_storecnt_dscnt 0x0
	s_barrier_signal -1
	s_barrier_wait -1
	global_inv scope:SCOPE_SE
	ds_load_b128 v[0:3], v234
	ds_load_b128 v[4:7], v234 offset:10816
	ds_load_b128 v[8:11], v234 offset:832
	;; [unrolled: 1-line block ×3, first 2 shown]
	s_clause 0x1
	scratch_load_b128 v[92:95], off, off offset:44 th:TH_LOAD_LU
	scratch_load_b64 v[16:17], off, off offset:32 th:TH_LOAD_LU
	s_mov_b32 s2, 0x7ab2bedd
	s_mov_b32 s3, 0x3f483c97
	s_mul_u64 s[0:1], s[4:5], 0x2a40
	s_movk_i32 s8, 0xd900
	s_mov_b32 s9, -1
	s_wait_loadcnt_dscnt 0x103
	v_mul_f64_e32 v[56:57], v[94:95], v[2:3]
	v_mul_f64_e32 v[58:59], v[94:95], v[0:1]
	scratch_load_b128 v[94:97], off, off offset:76 th:TH_LOAD_LU ; 16-byte Folded Reload
	s_wait_loadcnt 0x1
	v_mov_b32_e32 v90, v16
	s_delay_alu instid0(VALU_DEP_1)
	v_mad_co_u64_u32 v[68:69], null, s6, v90, 0
	v_fma_f64 v[56:57], v[92:93], v[0:1], v[56:57]
	v_fma_f64 v[58:59], v[92:93], v[2:3], -v[58:59]
	s_wait_loadcnt_dscnt 0x2
	v_mul_f64_e32 v[60:61], v[96:97], v[6:7]
	v_mul_f64_e32 v[62:63], v[96:97], v[4:5]
	scratch_load_b128 v[96:99], off, off offset:108 th:TH_LOAD_LU ; 16-byte Folded Reload
	ds_load_b128 v[16:19], v234 offset:11648
	ds_load_b128 v[20:23], v234 offset:1664
	scratch_load_b32 v91, off, off offset:40 th:TH_LOAD_LU ; 4-byte Folded Reload
	ds_load_b128 v[24:27], v234 offset:12480
	ds_load_b128 v[28:31], v234 offset:2496
	scratch_load_b32 v116, off, off offset:156 th:TH_LOAD_LU ; 4-byte Folded Reload
	ds_load_b128 v[32:35], v234 offset:13312
	ds_load_b128 v[36:39], v234 offset:14144
	;; [unrolled: 1-line block ×6, first 2 shown]
	scratch_load_b128 v[106:109], off, off offset:60 th:TH_LOAD_LU ; 16-byte Folded Reload
	v_fma_f64 v[60:61], v[94:95], v[4:5], v[60:61]
	v_fma_f64 v[62:63], v[94:95], v[6:7], -v[62:63]
	s_wait_loadcnt_dscnt 0x30b
	v_mul_f64_e32 v[64:65], v[98:99], v[10:11]
	v_mul_f64_e32 v[66:67], v[98:99], v[8:9]
	s_wait_loadcnt 0x2
	v_mad_co_u64_u32 v[70:71], null, s4, v91, 0
	s_wait_loadcnt 0x1
	v_mad_co_u64_u32 v[72:73], null, s4, v116, 0
	s_wait_loadcnt_dscnt 0x9
	v_mul_f64_e32 v[74:75], v[108:109], v[18:19]
	v_mul_f64_e32 v[76:77], v[108:109], v[16:17]
	scratch_load_b128 v[108:111], off, off offset:92 th:TH_LOAD_LU ; 16-byte Folded Reload
	v_fma_f64 v[64:65], v[96:97], v[8:9], v[64:65]
	v_mad_co_u64_u32 v[8:9], null, s7, v90, v[69:70]
	v_fma_f64 v[66:67], v[96:97], v[10:11], -v[66:67]
	v_mad_co_u64_u32 v[9:10], null, s5, v91, v[71:72]
	v_fma_f64 v[74:75], v[106:107], v[16:17], v[74:75]
	v_fma_f64 v[76:77], v[106:107], v[18:19], -v[76:77]
	s_wait_alu 0xfffe
	v_mul_f64_e32 v[10:11], s[2:3], v[58:59]
	v_mov_b32_e32 v69, v8
	v_mul_f64_e32 v[16:17], s[2:3], v[60:61]
	v_mul_f64_e32 v[18:19], s[2:3], v[62:63]
	v_mov_b32_e32 v71, v9
	s_mul_u64 s[6:7], s[4:5], s[8:9]
	v_lshlrev_b64_e32 v[8:9], 4, v[68:69]
	s_delay_alu instid0(VALU_DEP_2) | instskip(NEXT) | instid1(VALU_DEP_2)
	v_lshlrev_b64_e32 v[70:71], 4, v[70:71]
	v_add_co_u32 v104, vcc_lo, s12, v8
	s_wait_alu 0xfffd
	s_delay_alu instid0(VALU_DEP_3) | instskip(SKIP_1) | instid1(VALU_DEP_3)
	v_add_co_ci_u32_e32 v105, vcc_lo, s13, v9, vcc_lo
	v_mul_f64_e32 v[8:9], s[2:3], v[56:57]
	v_add_co_u32 v56, vcc_lo, v104, v70
	s_wait_alu 0xfffd
	s_delay_alu instid0(VALU_DEP_3) | instskip(NEXT) | instid1(VALU_DEP_2)
	v_add_co_ci_u32_e32 v57, vcc_lo, v105, v71, vcc_lo
	v_add_co_u32 v60, vcc_lo, v56, s0
	s_wait_alu 0xfffd
	s_delay_alu instid0(VALU_DEP_2)
	v_add_co_ci_u32_e32 v61, vcc_lo, s1, v57, vcc_lo
	s_wait_loadcnt_dscnt 0x8
	v_mul_f64_e32 v[78:79], v[110:111], v[22:23]
	v_mul_f64_e32 v[80:81], v[110:111], v[20:21]
	scratch_load_b128 v[110:113], off, off offset:124 th:TH_LOAD_LU ; 16-byte Folded Reload
	v_fma_f64 v[78:79], v[108:109], v[20:21], v[78:79]
	v_fma_f64 v[80:81], v[108:109], v[22:23], -v[80:81]
	v_mul_f64_e32 v[20:21], s[2:3], v[64:65]
	v_mul_f64_e32 v[22:23], s[2:3], v[66:67]
	s_wait_alu 0xfffe
	v_add_co_u32 v64, vcc_lo, v60, s6
	s_wait_alu 0xfffd
	v_add_co_ci_u32_e32 v65, vcc_lo, s7, v61, vcc_lo
	s_wait_loadcnt_dscnt 0x7
	v_mul_f64_e32 v[82:83], v[112:113], v[26:27]
	v_mul_f64_e32 v[84:85], v[112:113], v[24:25]
	scratch_load_b128 v[112:115], off, off offset:140 th:TH_LOAD_LU ; 16-byte Folded Reload
	ds_load_b128 v[0:3], v234 offset:4992
	ds_load_b128 v[4:7], v234 offset:5824
	s_clause 0x1
	scratch_load_b128 v[117:120], off, off offset:160 th:TH_LOAD_LU
	scratch_load_b128 v[106:109], off, off offset:224 th:TH_LOAD_LU
	v_fma_f64 v[82:83], v[110:111], v[24:25], v[82:83]
	v_fma_f64 v[84:85], v[110:111], v[26:27], -v[84:85]
	v_mul_f64_e32 v[24:25], s[2:3], v[74:75]
	v_mul_f64_e32 v[26:27], s[2:3], v[76:77]
	s_wait_loadcnt_dscnt 0x208
	v_mul_f64_e32 v[86:87], v[114:115], v[30:31]
	v_mul_f64_e32 v[88:89], v[114:115], v[28:29]
	s_wait_loadcnt_dscnt 0x107
	v_mul_f64_e32 v[90:91], v[119:120], v[34:35]
	v_mul_f64_e32 v[92:93], v[119:120], v[32:33]
	scratch_load_b128 v[119:122], off, off offset:176 th:TH_LOAD_LU ; 16-byte Folded Reload
	s_wait_loadcnt_dscnt 0x103
	v_mul_f64_e32 v[62:63], v[108:109], v[48:49]
	v_mul_f64_e32 v[58:59], v[108:109], v[50:51]
	v_fma_f64 v[86:87], v[112:113], v[28:29], v[86:87]
	v_fma_f64 v[88:89], v[112:113], v[30:31], -v[88:89]
	v_fma_f64 v[66:67], v[117:118], v[32:33], v[90:91]
	v_fma_f64 v[70:71], v[117:118], v[34:35], -v[92:93]
	v_mul_f64_e32 v[32:33], s[2:3], v[82:83]
	v_mul_f64_e32 v[34:35], s[2:3], v[84:85]
	v_add_co_u32 v90, vcc_lo, v64, s0
	s_wait_alu 0xfffd
	v_add_co_ci_u32_e32 v91, vcc_lo, s1, v65, vcc_lo
	v_mul_f64_e32 v[28:29], s[2:3], v[78:79]
	v_mul_f64_e32 v[30:31], s[2:3], v[80:81]
	v_add_co_u32 v92, vcc_lo, v90, s6
	s_wait_alu 0xfffd
	v_add_co_ci_u32_e32 v93, vcc_lo, s7, v91, vcc_lo
	s_wait_loadcnt 0x0
	v_mul_f64_e32 v[94:95], v[121:122], v[42:43]
	v_mul_f64_e32 v[96:97], v[121:122], v[40:41]
	scratch_load_b128 v[121:124], off, off offset:192 th:TH_LOAD_LU ; 16-byte Folded Reload
	v_fma_f64 v[40:41], v[119:120], v[40:41], v[94:95]
	v_fma_f64 v[42:43], v[119:120], v[42:43], -v[96:97]
	s_wait_loadcnt 0x0
	v_mul_f64_e32 v[98:99], v[123:124], v[38:39]
	v_mul_f64_e32 v[68:69], v[123:124], v[36:37]
	scratch_load_b128 v[123:126], off, off offset:208 th:TH_LOAD_LU ; 16-byte Folded Reload
	s_clause 0x2
	global_store_b128 v[56:57], v[8:11], off
	global_store_b128 v[60:61], v[16:19], off
	;; [unrolled: 1-line block ×3, first 2 shown]
	scratch_load_b128 v[82:85], off, off offset:240 th:TH_LOAD_LU ; 16-byte Folded Reload
	v_add_co_u32 v56, vcc_lo, v92, s0
	v_mad_co_u64_u32 v[16:17], null, s5, v116, v[73:74]
	s_wait_alu 0xfffd
	v_add_co_ci_u32_e32 v57, vcc_lo, s1, v93, vcc_lo
	s_delay_alu instid0(VALU_DEP_3) | instskip(SKIP_2) | instid1(VALU_DEP_3)
	v_add_co_u32 v74, vcc_lo, v56, s6
	v_mul_f64_e32 v[8:9], s[2:3], v[66:67]
	s_wait_alu 0xfffd
	v_add_co_ci_u32_e32 v75, vcc_lo, s7, v57, vcc_lo
	v_mul_f64_e32 v[10:11], s[2:3], v[70:71]
	v_mov_b32_e32 v73, v16
	v_mul_f64_e32 v[16:17], s[2:3], v[40:41]
	v_mul_f64_e32 v[18:19], s[2:3], v[42:43]
	v_mad_co_u64_u32 v[80:81], null, 0x340, s4, v[74:75]
	global_store_b128 v[90:91], v[24:27], off
	v_lshlrev_b64_e32 v[25:26], 4, v[72:73]
	global_store_b128 v[92:93], v[28:31], off
	v_mov_b32_e32 v24, v81
	s_delay_alu instid0(VALU_DEP_1)
	v_mad_co_u64_u32 v[27:28], null, 0x340, s5, v[24:25]
	v_fma_f64 v[94:95], v[121:122], v[36:37], v[98:99]
	v_mul_f64_e32 v[36:37], s[2:3], v[86:87]
	v_fma_f64 v[68:69], v[121:122], v[38:39], -v[68:69]
	v_mul_f64_e32 v[38:39], s[2:3], v[88:89]
	v_mov_b32_e32 v81, v27
	v_mul_f64_e32 v[20:21], s[2:3], v[94:95]
	s_delay_alu instid0(VALU_DEP_4)
	v_mul_f64_e32 v[22:23], s[2:3], v[68:69]
	s_wait_loadcnt 0x1
	v_mul_f64_e32 v[100:101], v[125:126], v[46:47]
	v_mul_f64_e32 v[102:103], v[125:126], v[44:45]
	s_wait_loadcnt_dscnt 0x1
	v_mul_f64_e32 v[60:61], v[84:85], v[2:3]
	v_mul_f64_e32 v[64:65], v[84:85], v[0:1]
	scratch_load_b128 v[84:87], off, off offset:256 th:TH_LOAD_LU ; 16-byte Folded Reload
	v_fma_f64 v[44:45], v[123:124], v[44:45], v[100:101]
	v_fma_f64 v[46:47], v[123:124], v[46:47], -v[102:103]
	s_delay_alu instid0(VALU_DEP_2) | instskip(NEXT) | instid1(VALU_DEP_2)
	v_mul_f64_e32 v[40:41], s[2:3], v[44:45]
	v_mul_f64_e32 v[42:43], s[2:3], v[46:47]
	v_fma_f64 v[46:47], v[106:107], v[50:51], -v[62:63]
	v_fma_f64 v[44:45], v[106:107], v[48:49], v[58:59]
	v_fma_f64 v[48:49], v[82:83], v[0:1], v[60:61]
	s_wait_loadcnt 0x0
	v_mul_f64_e32 v[76:77], v[86:87], v[54:55]
	v_mul_f64_e32 v[66:67], v[86:87], v[52:53]
	scratch_load_b128 v[86:89], off, off offset:304 th:TH_LOAD_LU ; 16-byte Folded Reload
	global_store_b128 v[56:57], v[32:35], off
	global_store_b128 v[74:75], v[36:39], off
	v_add_co_u32 v32, vcc_lo, v104, v25
	s_wait_alu 0xfffd
	v_add_co_ci_u32_e32 v33, vcc_lo, v105, v26, vcc_lo
	v_add_co_u32 v34, vcc_lo, v80, s0
	s_wait_alu 0xfffd
	v_add_co_ci_u32_e32 v35, vcc_lo, s1, v81, vcc_lo
	v_fma_f64 v[56:57], v[82:83], v[2:3], -v[64:65]
	s_delay_alu instid0(VALU_DEP_3) | instskip(SKIP_1) | instid1(VALU_DEP_3)
	v_add_co_u32 v50, vcc_lo, v34, s6
	s_wait_alu 0xfffd
	v_add_co_ci_u32_e32 v51, vcc_lo, s7, v35, vcc_lo
	ds_load_b128 v[0:3], v234 offset:16640
	ds_load_b128 v[24:27], v234 offset:6656
	;; [unrolled: 1-line block ×3, first 2 shown]
	global_store_b128 v[32:33], v[8:11], off
	global_store_b128 v[80:81], v[16:19], off
	;; [unrolled: 1-line block ×4, first 2 shown]
	scratch_load_b128 v[106:109], off, off offset:272 th:TH_LOAD_LU ; 16-byte Folded Reload
	ds_load_b128 v[8:11], v234 offset:7488
	ds_load_b128 v[20:23], v234 offset:8320
	;; [unrolled: 1-line block ×3, first 2 shown]
	v_add_co_u32 v74, vcc_lo, v50, s0
	s_wait_alu 0xfffd
	v_add_co_ci_u32_e32 v75, vcc_lo, s1, v51, vcc_lo
	v_fma_f64 v[52:53], v[84:85], v[52:53], v[76:77]
	v_fma_f64 v[54:55], v[84:85], v[54:55], -v[66:67]
	s_delay_alu instid0(VALU_DEP_2) | instskip(NEXT) | instid1(VALU_DEP_2)
	v_mul_f64_e32 v[52:53], s[2:3], v[52:53]
	v_mul_f64_e32 v[54:55], s[2:3], v[54:55]
	s_wait_loadcnt_dscnt 0x106
	v_mul_f64_e32 v[70:71], v[88:89], v[6:7]
	v_mul_f64_e32 v[78:79], v[88:89], v[4:5]
	s_wait_loadcnt_dscnt 0x5
	v_mul_f64_e32 v[62:63], v[108:109], v[2:3]
	v_mul_f64_e32 v[64:65], v[108:109], v[0:1]
	scratch_load_b128 v[108:111], off, off offset:288 th:TH_LOAD_LU ; 16-byte Folded Reload
	v_fma_f64 v[58:59], v[86:87], v[4:5], v[70:71]
	v_fma_f64 v[60:61], v[86:87], v[6:7], -v[78:79]
	v_mul_f64_e32 v[6:7], s[2:3], v[46:47]
	v_mul_f64_e32 v[46:47], s[2:3], v[56:57]
	;; [unrolled: 1-line block ×4, first 2 shown]
	v_fma_f64 v[0:1], v[106:107], v[0:1], v[62:63]
	v_fma_f64 v[2:3], v[106:107], v[2:3], -v[64:65]
	v_add_co_u32 v62, vcc_lo, v74, s6
	s_wait_alu 0xfffd
	v_add_co_ci_u32_e32 v63, vcc_lo, s7, v75, vcc_lo
	s_delay_alu instid0(VALU_DEP_2) | instskip(SKIP_1) | instid1(VALU_DEP_2)
	v_add_co_u32 v64, vcc_lo, v62, s0
	s_wait_alu 0xfffd
	v_add_co_ci_u32_e32 v65, vcc_lo, s1, v63, vcc_lo
	v_mul_f64_e32 v[56:57], s[2:3], v[58:59]
	v_mul_f64_e32 v[58:59], s[2:3], v[60:61]
	;; [unrolled: 1-line block ×4, first 2 shown]
	s_wait_loadcnt_dscnt 0x4
	v_mul_f64_e32 v[66:67], v[110:111], v[26:27]
	v_mul_f64_e32 v[68:69], v[110:111], v[24:25]
	scratch_load_b128 v[110:113], off, off offset:320 th:TH_LOAD_LU ; 16-byte Folded Reload
	ds_load_b128 v[32:35], v234 offset:19136
	ds_load_b128 v[36:39], v234 offset:9152
	;; [unrolled: 1-line block ×4, first 2 shown]
	v_fma_f64 v[24:25], v[108:109], v[24:25], v[66:67]
	v_fma_f64 v[26:27], v[108:109], v[26:27], -v[68:69]
	v_add_co_u32 v66, vcc_lo, v64, s6
	s_wait_alu 0xfffd
	v_add_co_ci_u32_e32 v67, vcc_lo, s7, v65, vcc_lo
	s_wait_loadcnt_dscnt 0x7
	v_mul_f64_e32 v[70:71], v[112:113], v[30:31]
	v_mul_f64_e32 v[72:73], v[112:113], v[28:29]
	scratch_load_b128 v[112:115], off, off offset:336 th:TH_LOAD_LU ; 16-byte Folded Reload
	v_fma_f64 v[28:29], v[110:111], v[28:29], v[70:71]
	v_fma_f64 v[30:31], v[110:111], v[30:31], -v[72:73]
	s_wait_loadcnt_dscnt 0x6
	v_mul_f64_e32 v[76:77], v[114:115], v[10:11]
	v_mul_f64_e32 v[78:79], v[114:115], v[8:9]
	scratch_load_b128 v[114:117], off, off offset:352 th:TH_LOAD_LU ; 16-byte Folded Reload
	v_fma_f64 v[68:69], v[112:113], v[8:9], v[76:77]
	v_fma_f64 v[70:71], v[112:113], v[10:11], -v[78:79]
	v_mul_f64_e32 v[8:9], s[2:3], v[28:29]
	v_mul_f64_e32 v[10:11], s[2:3], v[30:31]
	s_wait_loadcnt_dscnt 0x4
	v_mul_f64_e32 v[80:81], v[116:117], v[18:19]
	v_mul_f64_e32 v[82:83], v[116:117], v[16:17]
	scratch_load_b128 v[116:119], off, off offset:368 th:TH_LOAD_LU ; 16-byte Folded Reload
	v_fma_f64 v[16:17], v[114:115], v[16:17], v[80:81]
	v_fma_f64 v[18:19], v[114:115], v[18:19], -v[82:83]
	s_delay_alu instid0(VALU_DEP_2) | instskip(NEXT) | instid1(VALU_DEP_2)
	v_mul_f64_e32 v[16:17], s[2:3], v[16:17]
	v_mul_f64_e32 v[18:19], s[2:3], v[18:19]
	s_wait_loadcnt 0x0
	v_mul_f64_e32 v[60:61], v[118:119], v[22:23]
	v_mul_f64_e32 v[84:85], v[118:119], v[20:21]
	scratch_load_b128 v[118:121], off, off offset:384 th:TH_LOAD_LU ; 16-byte Folded Reload
	v_fma_f64 v[20:21], v[116:117], v[20:21], v[60:61]
	v_fma_f64 v[22:23], v[116:117], v[22:23], -v[84:85]
	s_delay_alu instid0(VALU_DEP_2) | instskip(NEXT) | instid1(VALU_DEP_2)
	v_mul_f64_e32 v[20:21], s[2:3], v[20:21]
	v_mul_f64_e32 v[22:23], s[2:3], v[22:23]
	s_wait_loadcnt_dscnt 0x3
	v_mul_f64_e32 v[86:87], v[120:121], v[34:35]
	v_mul_f64_e32 v[88:89], v[120:121], v[32:33]
	scratch_load_b128 v[120:123], off, off offset:400 th:TH_LOAD_LU ; 16-byte Folded Reload
	v_fma_f64 v[32:33], v[118:119], v[32:33], v[86:87]
	v_fma_f64 v[34:35], v[118:119], v[34:35], -v[88:89]
	s_wait_loadcnt_dscnt 0x2
	v_mul_f64_e32 v[90:91], v[122:123], v[38:39]
	v_mul_f64_e32 v[92:93], v[122:123], v[36:37]
	scratch_load_b128 v[122:125], off, off offset:416 th:TH_LOAD_LU ; 16-byte Folded Reload
	v_fma_f64 v[36:37], v[120:121], v[36:37], v[90:91]
	v_fma_f64 v[38:39], v[120:121], v[38:39], -v[92:93]
	s_delay_alu instid0(VALU_DEP_2) | instskip(NEXT) | instid1(VALU_DEP_2)
	v_mul_f64_e32 v[28:29], s[2:3], v[36:37]
	v_mul_f64_e32 v[30:31], s[2:3], v[38:39]
	s_wait_loadcnt_dscnt 0x1
	v_mul_f64_e32 v[94:95], v[124:125], v[42:43]
	v_mul_f64_e32 v[96:97], v[124:125], v[40:41]
	scratch_load_b128 v[124:127], off, off offset:432 th:TH_LOAD_LU ; 16-byte Folded Reload
	v_fma_f64 v[40:41], v[122:123], v[40:41], v[94:95]
	v_fma_f64 v[42:43], v[122:123], v[42:43], -v[96:97]
	s_wait_loadcnt 0x0
	v_mul_f64_e32 v[98:99], v[126:127], v[14:15]
	v_mul_f64_e32 v[100:101], v[126:127], v[12:13]
	scratch_load_b128 v[126:129], off, off offset:448 th:TH_LOAD_LU ; 16-byte Folded Reload
	global_store_b128 v[74:75], v[4:7], off
	global_store_b128 v[62:63], v[44:47], off
	global_store_b128 v[64:65], v[52:55], off
	global_store_b128 v[66:67], v[56:59], off
	v_mul_f64_e32 v[4:5], s[2:3], v[24:25]
	v_mul_f64_e32 v[6:7], s[2:3], v[26:27]
	v_add_co_u32 v52, vcc_lo, v66, s0
	s_wait_alu 0xfffd
	v_add_co_ci_u32_e32 v53, vcc_lo, s1, v67, vcc_lo
	v_mul_f64_e32 v[24:25], s[2:3], v[32:33]
	s_delay_alu instid0(VALU_DEP_3) | instskip(SKIP_1) | instid1(VALU_DEP_3)
	v_add_co_u32 v54, vcc_lo, v52, s6
	s_wait_alu 0xfffd
	v_add_co_ci_u32_e32 v55, vcc_lo, s7, v53, vcc_lo
	v_mul_f64_e32 v[26:27], s[2:3], v[34:35]
	s_delay_alu instid0(VALU_DEP_3) | instskip(SKIP_1) | instid1(VALU_DEP_3)
	;; [unrolled: 5-line block ×3, first 2 shown]
	v_add_co_u32 v58, vcc_lo, v56, s6
	s_wait_alu 0xfffd
	v_add_co_ci_u32_e32 v59, vcc_lo, s7, v57, vcc_lo
	v_mul_f64_e32 v[34:35], s[2:3], v[42:43]
	global_store_b128 v[52:53], v[0:3], off
	v_fma_f64 v[44:45], v[124:125], v[12:13], v[98:99]
	v_fma_f64 v[46:47], v[124:125], v[14:15], -v[100:101]
	v_mul_f64_e32 v[12:13], s[2:3], v[68:69]
	v_mul_f64_e32 v[14:15], s[2:3], v[70:71]
	global_store_b128 v[54:55], v[4:7], off
	global_store_b128 v[56:57], v[8:11], off
	v_mul_f64_e32 v[36:37], s[2:3], v[44:45]
	v_mul_f64_e32 v[38:39], s[2:3], v[46:47]
	v_add_co_u32 v44, vcc_lo, v58, s0
	s_wait_alu 0xfffd
	v_add_co_ci_u32_e32 v45, vcc_lo, s1, v59, vcc_lo
	global_store_b128 v[58:59], v[12:15], off
	v_add_co_u32 v0, vcc_lo, v44, s6
	s_wait_alu 0xfffd
	v_add_co_ci_u32_e32 v1, vcc_lo, s7, v45, vcc_lo
	global_store_b128 v[44:45], v[16:19], off
	;; [unrolled: 4-line block ×3, first 2 shown]
	v_add_co_u32 v4, vcc_lo, v2, s6
	s_wait_alu 0xfffd
	v_add_co_ci_u32_e32 v5, vcc_lo, s7, v3, vcc_lo
	s_delay_alu instid0(VALU_DEP_2) | instskip(SKIP_1) | instid1(VALU_DEP_2)
	v_add_co_u32 v6, vcc_lo, v4, s0
	s_wait_alu 0xfffd
	v_add_co_ci_u32_e32 v7, vcc_lo, s1, v5, vcc_lo
	s_delay_alu instid0(VALU_DEP_2) | instskip(SKIP_1) | instid1(VALU_DEP_2)
	;; [unrolled: 4-line block ×3, first 2 shown]
	v_add_co_u32 v0, vcc_lo, v8, s0
	s_wait_alu 0xfffd
	v_add_co_ci_u32_e32 v1, vcc_lo, s1, v9, vcc_lo
	s_wait_loadcnt_dscnt 0x0
	v_mul_f64_e32 v[102:103], v[128:129], v[50:51]
	v_mul_f64_e32 v[104:105], v[128:129], v[48:49]
	s_delay_alu instid0(VALU_DEP_2) | instskip(NEXT) | instid1(VALU_DEP_2)
	v_fma_f64 v[48:49], v[126:127], v[48:49], v[102:103]
	v_fma_f64 v[50:51], v[126:127], v[50:51], -v[104:105]
	s_delay_alu instid0(VALU_DEP_2) | instskip(NEXT) | instid1(VALU_DEP_2)
	v_mul_f64_e32 v[40:41], s[2:3], v[48:49]
	v_mul_f64_e32 v[42:43], s[2:3], v[50:51]
	global_store_b128 v[2:3], v[24:27], off
	global_store_b128 v[4:5], v[28:31], off
	;; [unrolled: 1-line block ×5, first 2 shown]
.LBB0_12:
	s_nop 0
	s_sendmsg sendmsg(MSG_DEALLOC_VGPRS)
	s_endpgm
	.section	.rodata,"a",@progbits
	.p2align	6, 0x0
	.amdhsa_kernel bluestein_single_back_len1352_dim1_dp_op_CI_CI
		.amdhsa_group_segment_fixed_size 21632
		.amdhsa_private_segment_fixed_size 964
		.amdhsa_kernarg_size 104
		.amdhsa_user_sgpr_count 2
		.amdhsa_user_sgpr_dispatch_ptr 0
		.amdhsa_user_sgpr_queue_ptr 0
		.amdhsa_user_sgpr_kernarg_segment_ptr 1
		.amdhsa_user_sgpr_dispatch_id 0
		.amdhsa_user_sgpr_private_segment_size 0
		.amdhsa_wavefront_size32 1
		.amdhsa_uses_dynamic_stack 0
		.amdhsa_enable_private_segment 1
		.amdhsa_system_sgpr_workgroup_id_x 1
		.amdhsa_system_sgpr_workgroup_id_y 0
		.amdhsa_system_sgpr_workgroup_id_z 0
		.amdhsa_system_sgpr_workgroup_info 0
		.amdhsa_system_vgpr_workitem_id 0
		.amdhsa_next_free_vgpr 256
		.amdhsa_next_free_sgpr 50
		.amdhsa_reserve_vcc 1
		.amdhsa_float_round_mode_32 0
		.amdhsa_float_round_mode_16_64 0
		.amdhsa_float_denorm_mode_32 3
		.amdhsa_float_denorm_mode_16_64 3
		.amdhsa_fp16_overflow 0
		.amdhsa_workgroup_processor_mode 1
		.amdhsa_memory_ordered 1
		.amdhsa_forward_progress 0
		.amdhsa_round_robin_scheduling 0
		.amdhsa_exception_fp_ieee_invalid_op 0
		.amdhsa_exception_fp_denorm_src 0
		.amdhsa_exception_fp_ieee_div_zero 0
		.amdhsa_exception_fp_ieee_overflow 0
		.amdhsa_exception_fp_ieee_underflow 0
		.amdhsa_exception_fp_ieee_inexact 0
		.amdhsa_exception_int_div_zero 0
	.end_amdhsa_kernel
	.text
.Lfunc_end0:
	.size	bluestein_single_back_len1352_dim1_dp_op_CI_CI, .Lfunc_end0-bluestein_single_back_len1352_dim1_dp_op_CI_CI
                                        ; -- End function
	.section	.AMDGPU.csdata,"",@progbits
; Kernel info:
; codeLenInByte = 41000
; NumSgprs: 52
; NumVgprs: 256
; ScratchSize: 964
; MemoryBound: 0
; FloatMode: 240
; IeeeMode: 1
; LDSByteSize: 21632 bytes/workgroup (compile time only)
; SGPRBlocks: 6
; VGPRBlocks: 31
; NumSGPRsForWavesPerEU: 52
; NumVGPRsForWavesPerEU: 256
; Occupancy: 3
; WaveLimiterHint : 1
; COMPUTE_PGM_RSRC2:SCRATCH_EN: 1
; COMPUTE_PGM_RSRC2:USER_SGPR: 2
; COMPUTE_PGM_RSRC2:TRAP_HANDLER: 0
; COMPUTE_PGM_RSRC2:TGID_X_EN: 1
; COMPUTE_PGM_RSRC2:TGID_Y_EN: 0
; COMPUTE_PGM_RSRC2:TGID_Z_EN: 0
; COMPUTE_PGM_RSRC2:TIDIG_COMP_CNT: 0
	.text
	.p2alignl 7, 3214868480
	.fill 96, 4, 3214868480
	.type	__hip_cuid_448594b13dd4dd19,@object ; @__hip_cuid_448594b13dd4dd19
	.section	.bss,"aw",@nobits
	.globl	__hip_cuid_448594b13dd4dd19
__hip_cuid_448594b13dd4dd19:
	.byte	0                               ; 0x0
	.size	__hip_cuid_448594b13dd4dd19, 1

	.ident	"AMD clang version 19.0.0git (https://github.com/RadeonOpenCompute/llvm-project roc-6.4.0 25133 c7fe45cf4b819c5991fe208aaa96edf142730f1d)"
	.section	".note.GNU-stack","",@progbits
	.addrsig
	.addrsig_sym __hip_cuid_448594b13dd4dd19
	.amdgpu_metadata
---
amdhsa.kernels:
  - .args:
      - .actual_access:  read_only
        .address_space:  global
        .offset:         0
        .size:           8
        .value_kind:     global_buffer
      - .actual_access:  read_only
        .address_space:  global
        .offset:         8
        .size:           8
        .value_kind:     global_buffer
      - .actual_access:  read_only
        .address_space:  global
        .offset:         16
        .size:           8
        .value_kind:     global_buffer
      - .actual_access:  read_only
        .address_space:  global
        .offset:         24
        .size:           8
        .value_kind:     global_buffer
      - .actual_access:  read_only
        .address_space:  global
        .offset:         32
        .size:           8
        .value_kind:     global_buffer
      - .offset:         40
        .size:           8
        .value_kind:     by_value
      - .address_space:  global
        .offset:         48
        .size:           8
        .value_kind:     global_buffer
      - .address_space:  global
        .offset:         56
        .size:           8
        .value_kind:     global_buffer
      - .address_space:  global
        .offset:         64
        .size:           8
        .value_kind:     global_buffer
      - .address_space:  global
        .offset:         72
        .size:           8
        .value_kind:     global_buffer
      - .offset:         80
        .size:           4
        .value_kind:     by_value
      - .address_space:  global
        .offset:         88
        .size:           8
        .value_kind:     global_buffer
      - .address_space:  global
        .offset:         96
        .size:           8
        .value_kind:     global_buffer
    .group_segment_fixed_size: 21632
    .kernarg_segment_align: 8
    .kernarg_segment_size: 104
    .language:       OpenCL C
    .language_version:
      - 2
      - 0
    .max_flat_workgroup_size: 52
    .name:           bluestein_single_back_len1352_dim1_dp_op_CI_CI
    .private_segment_fixed_size: 964
    .sgpr_count:     52
    .sgpr_spill_count: 0
    .symbol:         bluestein_single_back_len1352_dim1_dp_op_CI_CI.kd
    .uniform_work_group_size: 1
    .uses_dynamic_stack: false
    .vgpr_count:     256
    .vgpr_spill_count: 248
    .wavefront_size: 32
    .workgroup_processor_mode: 1
amdhsa.target:   amdgcn-amd-amdhsa--gfx1201
amdhsa.version:
  - 1
  - 2
...

	.end_amdgpu_metadata
